;; amdgpu-corpus repo=ROCm/rocFFT kind=compiled arch=gfx1030 opt=O3
	.text
	.amdgcn_target "amdgcn-amd-amdhsa--gfx1030"
	.amdhsa_code_object_version 6
	.protected	bluestein_single_fwd_len833_dim1_half_op_CI_CI ; -- Begin function bluestein_single_fwd_len833_dim1_half_op_CI_CI
	.globl	bluestein_single_fwd_len833_dim1_half_op_CI_CI
	.p2align	8
	.type	bluestein_single_fwd_len833_dim1_half_op_CI_CI,@function
bluestein_single_fwd_len833_dim1_half_op_CI_CI: ; @bluestein_single_fwd_len833_dim1_half_op_CI_CI
; %bb.0:
	s_load_dwordx4 s[0:3], s[4:5], 0x28
	v_mul_u32_u24_e32 v1, 0x227, v0
	v_mov_b32_e32 v9, 0
	v_lshrrev_b32_e32 v1, 16, v1
	v_add_nc_u32_e32 v8, s6, v1
	s_waitcnt lgkmcnt(0)
	v_cmp_gt_u64_e32 vcc_lo, s[0:1], v[8:9]
	s_and_saveexec_b32 s0, vcc_lo
	s_cbranch_execz .LBB0_15
; %bb.1:
	s_clause 0x1
	s_load_dwordx2 s[8:9], s[4:5], 0x0
	s_load_dwordx2 s[10:11], s[4:5], 0x38
	v_mul_lo_u16 v1, 0x77, v1
	v_sub_nc_u16 v0, v0, v1
	v_and_b32_e32 v30, 0xffff, v0
	v_cmp_gt_u16_e32 vcc_lo, 49, v0
	v_lshlrev_b32_e32 v29, 2, v30
	s_and_saveexec_b32 s1, vcc_lo
	s_cbranch_execz .LBB0_3
; %bb.2:
	s_load_dwordx2 s[6:7], s[4:5], 0x18
	v_add_nc_u32_e32 v42, 0x600, v29
	s_waitcnt lgkmcnt(0)
	s_load_dwordx4 s[12:15], s[6:7], 0x0
	s_waitcnt lgkmcnt(0)
	v_mad_u64_u32 v[0:1], null, s14, v8, 0
	v_mad_u64_u32 v[2:3], null, s12, v30, 0
	;; [unrolled: 1-line block ×4, first 2 shown]
	v_mov_b32_e32 v1, v4
	v_lshlrev_b64 v[0:1], 2, v[0:1]
	v_mov_b32_e32 v3, v5
	v_add_co_u32 v0, s0, s2, v0
	v_lshlrev_b64 v[2:3], 2, v[2:3]
	v_add_co_ci_u32_e64 v1, s0, s3, v1, s0
	v_add_co_u32 v4, s0, s8, v29
	v_add_co_ci_u32_e64 v5, null, s9, 0, s0
	v_add_co_u32 v0, s0, v0, v2
	v_add_co_ci_u32_e64 v1, s0, v1, v3, s0
	s_mul_i32 s0, s13, 0xc4
	s_mul_hi_u32 s2, s12, 0xc4
	s_mul_i32 s3, s12, 0xc4
	s_add_i32 s2, s2, s0
	global_load_dword v6, v[0:1], off
	v_add_co_u32 v0, s0, v0, s3
	v_add_co_ci_u32_e64 v1, s0, s2, v1, s0
	s_clause 0x3
	global_load_dword v7, v29, s[8:9]
	global_load_dword v9, v29, s[8:9] offset:196
	global_load_dword v10, v29, s[8:9] offset:392
	;; [unrolled: 1-line block ×3, first 2 shown]
	v_add_co_u32 v2, s0, v0, s3
	v_add_co_ci_u32_e64 v3, s0, s2, v1, s0
	s_clause 0x1
	global_load_dword v12, v[0:1], off
	global_load_dword v13, v[2:3], off
	v_add_co_u32 v0, s0, v2, s3
	v_add_co_ci_u32_e64 v1, s0, s2, v3, s0
	v_add_co_u32 v2, s0, v0, s3
	v_add_co_ci_u32_e64 v3, s0, s2, v1, s0
	global_load_dword v14, v[0:1], off
	v_add_co_u32 v0, s0, v2, s3
	v_add_co_ci_u32_e64 v1, s0, s2, v3, s0
	s_clause 0x3
	global_load_dword v15, v29, s[8:9] offset:784
	global_load_dword v16, v29, s[8:9] offset:980
	;; [unrolled: 1-line block ×4, first 2 shown]
	global_load_dword v19, v[2:3], off
	global_load_dword v20, v[0:1], off
	v_add_co_u32 v0, s0, v0, s3
	v_add_co_ci_u32_e64 v1, s0, s2, v1, s0
	s_clause 0x2
	global_load_dword v21, v29, s[8:9] offset:1568
	global_load_dword v22, v29, s[8:9] offset:1764
	;; [unrolled: 1-line block ×3, first 2 shown]
	v_add_co_u32 v2, s0, v0, s3
	v_add_co_ci_u32_e64 v3, s0, s2, v1, s0
	global_load_dword v24, v[0:1], off
	v_add_co_u32 v0, s0, v2, s3
	v_add_co_ci_u32_e64 v1, s0, s2, v3, s0
	global_load_dword v25, v[2:3], off
	;; [unrolled: 3-line block ×3, first 2 shown]
	v_add_co_u32 v0, s0, v2, s3
	v_add_co_ci_u32_e64 v1, s0, s2, v3, s0
	v_add_co_u32 v4, s0, 0x800, v4
	global_load_dword v27, v[2:3], off
	global_load_dword v28, v[0:1], off
	v_add_co_ci_u32_e64 v5, s0, 0, v5, s0
	v_add_co_u32 v0, s0, v0, s3
	v_add_co_ci_u32_e64 v1, s0, s2, v1, s0
	s_clause 0x2
	global_load_dword v31, v[4:5], off offset:108
	global_load_dword v32, v[4:5], off offset:304
	;; [unrolled: 1-line block ×3, first 2 shown]
	v_add_co_u32 v2, s0, v0, s3
	v_add_co_ci_u32_e64 v3, s0, s2, v1, s0
	global_load_dword v34, v[0:1], off
	v_add_co_u32 v0, s0, v2, s3
	v_add_co_ci_u32_e64 v1, s0, s2, v3, s0
	global_load_dword v35, v[2:3], off
	v_add_co_u32 v2, s0, v0, s3
	v_add_co_ci_u32_e64 v3, s0, s2, v1, s0
	global_load_dword v36, v[0:1], off
	v_add_co_u32 v0, s0, v2, s3
	v_add_co_ci_u32_e64 v1, s0, s2, v3, s0
	global_load_dword v37, v[2:3], off
	v_add_co_u32 v2, s0, v0, s3
	v_add_co_ci_u32_e64 v3, s0, s2, v1, s0
	global_load_dword v38, v[4:5], off offset:696
	global_load_dword v0, v[0:1], off
	global_load_dword v1, v[2:3], off
	s_clause 0x1
	global_load_dword v2, v[4:5], off offset:892
	global_load_dword v3, v[4:5], off offset:1088
	v_add_nc_u32_e32 v5, 0x400, v29
	s_waitcnt vmcnt(33)
	v_lshrrev_b32_e32 v4, 16, v6
	s_waitcnt vmcnt(32)
	v_mul_f16_sdwa v39, v7, v6 dst_sel:DWORD dst_unused:UNUSED_PAD src0_sel:WORD_1 src1_sel:DWORD
	v_mul_f16_sdwa v40, v7, v4 dst_sel:DWORD dst_unused:UNUSED_PAD src0_sel:WORD_1 src1_sel:DWORD
	v_fma_f16 v4, v7, v4, -v39
	s_waitcnt vmcnt(28)
	v_lshrrev_b32_e32 v41, 16, v12
	v_mul_f16_sdwa v43, v9, v12 dst_sel:DWORD dst_unused:UNUSED_PAD src0_sel:WORD_1 src1_sel:DWORD
	v_fmac_f16_e32 v40, v7, v6
	s_waitcnt vmcnt(27)
	v_lshrrev_b32_e32 v7, 16, v13
	v_mul_f16_sdwa v6, v9, v41 dst_sel:DWORD dst_unused:UNUSED_PAD src0_sel:WORD_1 src1_sel:DWORD
	v_fma_f16 v39, v9, v41, -v43
	v_mul_f16_sdwa v41, v10, v13 dst_sel:DWORD dst_unused:UNUSED_PAD src0_sel:WORD_1 src1_sel:DWORD
	v_pack_b32_f16 v4, v40, v4
	v_fmac_f16_e32 v6, v9, v12
	v_mul_f16_sdwa v9, v10, v7 dst_sel:DWORD dst_unused:UNUSED_PAD src0_sel:WORD_1 src1_sel:DWORD
	v_fma_f16 v7, v10, v7, -v41
	s_waitcnt vmcnt(26)
	v_lshrrev_b32_e32 v12, 16, v14
	v_mul_f16_sdwa v40, v11, v14 dst_sel:DWORD dst_unused:UNUSED_PAD src0_sel:WORD_1 src1_sel:DWORD
	v_pack_b32_f16 v6, v6, v39
	v_fmac_f16_e32 v9, v10, v13
	s_waitcnt vmcnt(21)
	v_lshrrev_b32_e32 v13, 16, v19
	v_mul_f16_sdwa v10, v11, v12 dst_sel:DWORD dst_unused:UNUSED_PAD src0_sel:WORD_1 src1_sel:DWORD
	v_fma_f16 v12, v11, v12, -v40
	v_mul_f16_sdwa v39, v15, v19 dst_sel:DWORD dst_unused:UNUSED_PAD src0_sel:WORD_1 src1_sel:DWORD
	ds_write2_b32 v29, v4, v6 offset1:49
	v_pack_b32_f16 v4, v9, v7
	v_fmac_f16_e32 v10, v11, v14
	v_mul_f16_sdwa v6, v15, v13 dst_sel:DWORD dst_unused:UNUSED_PAD src0_sel:WORD_1 src1_sel:DWORD
	s_waitcnt vmcnt(20)
	v_lshrrev_b32_e32 v7, 16, v20
	v_mul_f16_sdwa v9, v16, v20 dst_sel:DWORD dst_unused:UNUSED_PAD src0_sel:WORD_1 src1_sel:DWORD
	v_fma_f16 v11, v15, v13, -v39
	v_pack_b32_f16 v10, v10, v12
	v_fmac_f16_e32 v6, v15, v19
	v_mul_f16_sdwa v12, v16, v7 dst_sel:DWORD dst_unused:UNUSED_PAD src0_sel:WORD_1 src1_sel:DWORD
	v_fma_f16 v7, v16, v7, -v9
	s_waitcnt vmcnt(16)
	v_lshrrev_b32_e32 v9, 16, v24
	v_mul_f16_sdwa v13, v17, v24 dst_sel:DWORD dst_unused:UNUSED_PAD src0_sel:WORD_1 src1_sel:DWORD
	ds_write2_b32 v29, v4, v10 offset0:98 offset1:147
	v_pack_b32_f16 v4, v6, v11
	v_fmac_f16_e32 v12, v16, v20
	v_mul_f16_sdwa v6, v17, v9 dst_sel:DWORD dst_unused:UNUSED_PAD src0_sel:WORD_1 src1_sel:DWORD
	s_waitcnt vmcnt(15)
	v_lshrrev_b32_e32 v10, 16, v25
	v_mul_f16_sdwa v11, v18, v25 dst_sel:DWORD dst_unused:UNUSED_PAD src0_sel:WORD_1 src1_sel:DWORD
	v_fma_f16 v9, v17, v9, -v13
	v_pack_b32_f16 v7, v12, v7
	v_fmac_f16_e32 v6, v17, v24
	v_mul_f16_sdwa v12, v18, v10 dst_sel:DWORD dst_unused:UNUSED_PAD src0_sel:WORD_1 src1_sel:DWORD
	v_fma_f16 v10, v18, v10, -v11
	s_waitcnt vmcnt(14)
	v_lshrrev_b32_e32 v11, 16, v26
	v_mul_f16_sdwa v13, v21, v26 dst_sel:DWORD dst_unused:UNUSED_PAD src0_sel:WORD_1 src1_sel:DWORD
	ds_write2_b32 v29, v4, v7 offset0:196 offset1:245
	;; [unrolled: 15-line block ×3, first 2 shown]
	v_pack_b32_f16 v4, v6, v11
	v_fmac_f16_e32 v12, v22, v27
	v_mul_f16_sdwa v6, v23, v9 dst_sel:DWORD dst_unused:UNUSED_PAD src0_sel:WORD_1 src1_sel:DWORD
	s_waitcnt vmcnt(8)
	v_lshrrev_b32_e32 v10, 16, v34
	v_fma_f16 v9, v23, v9, -v13
	v_mul_f16_sdwa v11, v31, v34 dst_sel:DWORD dst_unused:UNUSED_PAD src0_sel:WORD_1 src1_sel:DWORD
	s_waitcnt vmcnt(7)
	v_lshrrev_b32_e32 v13, 16, v35
	v_fmac_f16_e32 v6, v23, v28
	v_pack_b32_f16 v7, v12, v7
	v_mul_f16_sdwa v12, v31, v10 dst_sel:DWORD dst_unused:UNUSED_PAD src0_sel:WORD_1 src1_sel:DWORD
	v_fma_f16 v10, v31, v10, -v11
	v_mul_f16_sdwa v11, v32, v35 dst_sel:DWORD dst_unused:UNUSED_PAD src0_sel:WORD_1 src1_sel:DWORD
	v_pack_b32_f16 v6, v6, v9
	v_mul_f16_sdwa v9, v32, v13 dst_sel:DWORD dst_unused:UNUSED_PAD src0_sel:WORD_1 src1_sel:DWORD
	v_fmac_f16_e32 v12, v31, v34
	s_waitcnt vmcnt(6)
	v_lshrrev_b32_e32 v14, 16, v36
	v_mul_f16_sdwa v15, v33, v36 dst_sel:DWORD dst_unused:UNUSED_PAD src0_sel:WORD_1 src1_sel:DWORD
	v_fma_f16 v11, v32, v13, -v11
	v_fmac_f16_e32 v9, v32, v35
	v_pack_b32_f16 v10, v12, v10
	v_mul_f16_sdwa v12, v33, v14 dst_sel:DWORD dst_unused:UNUSED_PAD src0_sel:WORD_1 src1_sel:DWORD
	v_fma_f16 v13, v33, v14, -v15
	s_waitcnt vmcnt(5)
	v_lshrrev_b32_e32 v14, 16, v37
	s_waitcnt vmcnt(4)
	v_mul_f16_sdwa v15, v38, v37 dst_sel:DWORD dst_unused:UNUSED_PAD src0_sel:WORD_1 src1_sel:DWORD
	v_pack_b32_f16 v9, v9, v11
	s_waitcnt vmcnt(3)
	v_lshrrev_b32_e32 v11, 16, v0
	s_waitcnt vmcnt(2)
	v_lshrrev_b32_e32 v16, 16, v1
	v_mul_f16_sdwa v17, v38, v14 dst_sel:DWORD dst_unused:UNUSED_PAD src0_sel:WORD_1 src1_sel:DWORD
	v_fma_f16 v14, v38, v14, -v15
	s_waitcnt vmcnt(1)
	v_mul_f16_sdwa v15, v2, v0 dst_sel:DWORD dst_unused:UNUSED_PAD src0_sel:WORD_1 src1_sel:DWORD
	v_mul_f16_sdwa v18, v2, v11 dst_sel:DWORD dst_unused:UNUSED_PAD src0_sel:WORD_1 src1_sel:DWORD
	s_waitcnt vmcnt(0)
	v_mul_f16_sdwa v19, v3, v16 dst_sel:DWORD dst_unused:UNUSED_PAD src0_sel:WORD_1 src1_sel:DWORD
	v_mul_f16_sdwa v20, v3, v1 dst_sel:DWORD dst_unused:UNUSED_PAD src0_sel:WORD_1 src1_sel:DWORD
	v_fmac_f16_e32 v12, v33, v36
	v_fmac_f16_e32 v17, v38, v37
	v_fma_f16 v11, v2, v11, -v15
	v_fmac_f16_e32 v18, v2, v0
	v_fmac_f16_e32 v19, v3, v1
	v_fma_f16 v0, v3, v16, -v20
	v_pack_b32_f16 v1, v12, v13
	v_add_nc_u32_e32 v2, 0x800, v29
	v_pack_b32_f16 v3, v17, v14
	v_pack_b32_f16 v11, v18, v11
	;; [unrolled: 1-line block ×3, first 2 shown]
	ds_write2_b32 v5, v4, v7 offset0:136 offset1:185
	ds_write2_b32 v42, v6, v10 offset0:106 offset1:155
	;; [unrolled: 1-line block ×4, first 2 shown]
	ds_write_b32 v29, v0 offset:3136
.LBB0_3:
	s_or_b32 exec_lo, exec_lo, s1
	s_clause 0x1
	s_load_dwordx2 s[2:3], s[4:5], 0x20
	s_load_dwordx2 s[0:1], s[4:5], 0x8
	s_waitcnt lgkmcnt(0)
	s_barrier
	buffer_gl0_inv
                                        ; implicit-def: $vgpr0
                                        ; implicit-def: $vgpr20
                                        ; implicit-def: $vgpr48
                                        ; implicit-def: $vgpr6
                                        ; implicit-def: $vgpr47
                                        ; implicit-def: $vgpr46
                                        ; implicit-def: $vgpr2
                                        ; implicit-def: $vgpr45
                                        ; implicit-def: $vgpr44
                                        ; implicit-def: $vgpr4
                                        ; implicit-def: $vgpr43
                                        ; implicit-def: $vgpr28
                                        ; implicit-def: $vgpr17
                                        ; implicit-def: $vgpr27
                                        ; implicit-def: $vgpr49
                                        ; implicit-def: $vgpr24
                                        ; implicit-def: $vgpr50
                                        ; implicit-def: $vgpr51
                                        ; implicit-def: $vgpr22
                                        ; implicit-def: $vgpr52
                                        ; implicit-def: $vgpr53
                                        ; implicit-def: $vgpr26
                                        ; implicit-def: $vgpr54
                                        ; implicit-def: $vgpr55
                                        ; implicit-def: $vgpr56
	s_and_saveexec_b32 s4, vcc_lo
	s_cbranch_execz .LBB0_5
; %bb.4:
	v_add_nc_u32_e32 v2, 0x400, v29
	v_add_nc_u32_e32 v3, 0x600, v29
	v_add_nc_u32_e32 v4, 0x800, v29
	ds_read2_b32 v[0:1], v29 offset1:49
	ds_read2_b32 v[25:26], v29 offset0:98 offset1:147
	ds_read2_b32 v[21:22], v29 offset0:196 offset1:245
	;; [unrolled: 1-line block ×7, first 2 shown]
	ds_read_b32 v17, v29 offset:3136
	s_waitcnt lgkmcnt(4)
	v_lshrrev_b32_e32 v49, 16, v19
	v_lshrrev_b32_e32 v56, 16, v1
	;; [unrolled: 1-line block ×9, first 2 shown]
	s_waitcnt lgkmcnt(3)
	v_lshrrev_b32_e32 v47, 16, v6
	v_lshrrev_b32_e32 v46, 16, v7
	s_waitcnt lgkmcnt(2)
	v_lshrrev_b32_e32 v45, 16, v2
	v_lshrrev_b32_e32 v44, 16, v3
	s_waitcnt lgkmcnt(1)
	v_lshrrev_b32_e32 v43, 16, v4
	v_lshrrev_b32_e32 v28, 16, v5
	s_waitcnt lgkmcnt(0)
	v_lshrrev_b32_e32 v27, 16, v17
.LBB0_5:
	s_or_b32 exec_lo, exec_lo, s4
	v_sub_f16_e32 v13, v56, v27
	v_add_f16_e32 v71, v17, v1
	v_sub_f16_e32 v15, v55, v28
	v_add_f16_e32 v69, v5, v25
	v_sub_f16_e32 v18, v54, v43
	v_mul_f16_e32 v57, 0xb964, v13
	v_mul_f16_e32 v62, 0xbb29, v13
	;; [unrolled: 1-line block ×4, first 2 shown]
	v_add_f16_e32 v70, v4, v26
	v_fmamk_f16 v9, v71, 0x39e9, v57
	v_fmamk_f16 v10, v71, 0x3722, v62
	v_mul_f16_e32 v58, 0xba62, v18
	v_fmamk_f16 v11, v69, 0x2de8, v59
	v_sub_f16_e32 v31, v53, v44
	v_add_f16_e32 v9, v9, v0
	v_fmamk_f16 v12, v69, 0xb8d2, v61
	v_add_f16_e32 v10, v10, v0
	v_mul_f16_e32 v63, 0x31e1, v18
	v_add_f16_e32 v72, v3, v21
	v_fmamk_f16 v14, v70, 0xb8d2, v58
	v_add_f16_e32 v9, v11, v9
	v_sub_f16_e32 v32, v52, v45
	v_mul_f16_e32 v64, 0xb1e1, v31
	v_add_f16_e32 v10, v12, v10
	v_fmamk_f16 v11, v70, 0xbbdd, v63
	v_mul_f16_e32 v67, 0x3bb2, v31
	v_add_f16_e32 v9, v14, v9
	v_fmamk_f16 v12, v72, 0xbbdd, v64
	v_add_f16_e32 v76, v2, v22
	v_mul_f16_e32 v60, 0x3836, v32
	v_add_f16_e32 v10, v11, v10
	v_fmamk_f16 v11, v72, 0xb461, v67
	v_mul_f16_e32 v66, 0x3964, v32
	v_sub_f16_e32 v33, v51, v46
	v_add_f16_e32 v9, v12, v9
	v_fmamk_f16 v12, v76, 0xbacd, v60
	v_add_f16_e32 v10, v11, v10
	v_fmamk_f16 v11, v76, 0x39e9, v66
	v_add_f16_e32 v77, v7, v23
	v_mul_f16_e32 v65, 0x3bb2, v33
	v_sub_f16_e32 v34, v50, v47
	v_mul_f16_e32 v73, 0xb5c8, v33
	v_add_f16_e32 v9, v12, v9
	v_add_f16_e32 v10, v11, v10
	v_fmamk_f16 v11, v77, 0xb461, v65
	v_add_f16_e32 v79, v6, v24
	v_mul_f16_e32 v68, 0x3b29, v34
	v_fmamk_f16 v12, v77, 0x3b76, v73
	v_mul_f16_e32 v74, 0xbbf7, v34
	v_add_f16_e32 v9, v11, v9
	v_mul_f16_e32 v84, 0xbbf7, v13
	v_fmamk_f16 v11, v79, 0x3722, v68
	v_add_f16_e32 v10, v12, v10
	v_fmamk_f16 v12, v79, 0x2de8, v74
	v_mul_f16_e32 v93, 0xbbb2, v13
	v_mul_f16_e32 v80, 0xb1e1, v15
	v_add_f16_e32 v9, v11, v9
	v_mul_f16_e32 v95, 0x3836, v15
	v_add_f16_e32 v11, v12, v10
	v_fmamk_f16 v10, v71, 0x2de8, v84
	v_fmamk_f16 v12, v71, 0xb461, v93
	v_sub_f16_e32 v35, v49, v48
	v_fmamk_f16 v14, v69, 0xbbdd, v80
	v_fmamk_f16 v16, v69, 0xbacd, v95
	v_add_f16_e32 v10, v10, v0
	v_add_f16_e32 v12, v12, v0
	v_mul_f16_e32 v81, 0x3bb2, v18
	v_mul_f16_e32 v96, 0x3964, v18
	v_add_f16_e32 v87, v20, v19
	v_mul_f16_e32 v75, 0x35c8, v35
	v_add_f16_e32 v10, v14, v10
	v_add_f16_e32 v12, v16, v12
	v_fmamk_f16 v14, v70, 0xb461, v81
	v_fmamk_f16 v16, v70, 0x39e9, v96
	v_mul_f16_e32 v82, 0x35c8, v31
	v_mul_f16_e32 v98, 0xbb29, v31
	v_fmamk_f16 v36, v87, 0x3b76, v75
	v_add_f16_e32 v14, v14, v10
	v_add_f16_e32 v12, v16, v12
	v_fmamk_f16 v16, v72, 0x3b76, v82
	v_fmamk_f16 v37, v72, 0x3722, v98
	v_mul_f16_e32 v85, 0xbb29, v32
	v_mul_f16_e32 v99, 0xb1e1, v32
	v_add_f16_e32 v10, v36, v9
	v_add_f16_e32 v9, v16, v14
	;; [unrolled: 1-line block ×3, first 2 shown]
	v_fmamk_f16 v14, v76, 0x3722, v85
	v_fmamk_f16 v16, v76, 0xbbdd, v99
	v_mul_f16_e32 v83, 0xb836, v33
	v_mul_f16_e32 v94, 0x3bf7, v33
	;; [unrolled: 1-line block ×3, first 2 shown]
	v_add_f16_e32 v9, v14, v9
	v_add_f16_e32 v12, v16, v12
	v_fmamk_f16 v14, v77, 0xbacd, v83
	v_fmamk_f16 v16, v77, 0x2de8, v94
	v_mul_f16_e32 v86, 0x3a62, v34
	v_mul_f16_e32 v97, 0xb5c8, v34
	v_fmamk_f16 v36, v87, 0xbacd, v78
	v_add_f16_e32 v14, v14, v9
	v_add_f16_e32 v12, v16, v12
	v_fmamk_f16 v16, v79, 0xb8d2, v86
	v_fmamk_f16 v37, v79, 0x3b76, v97
	v_mul_f16_e32 v107, 0xba62, v13
	v_add_f16_e32 v9, v36, v11
	v_mul_f16_e32 v11, 0xb836, v13
	v_add_f16_e32 v14, v16, v14
	v_add_f16_e32 v16, v37, v12
	v_fmamk_f16 v12, v71, 0xb8d2, v107
	v_mul_f16_e32 v108, 0x3bb2, v15
	v_fma_f16 v36, v71, 0xbacd, -v11
	v_fmac_f16_e32 v11, 0xbacd, v71
	v_mul_f16_e32 v37, 0x3b29, v15
	v_mul_f16_e32 v88, 0x3964, v35
	v_add_f16_e32 v12, v12, v0
	v_fmamk_f16 v38, v69, 0xb461, v108
	v_add_f16_e32 v11, v11, v0
	v_fma_f16 v39, v69, 0x3722, -v37
	v_fmac_f16_e32 v37, 0x3722, v69
	v_mul_f16_e32 v109, 0xb5c8, v18
	v_mul_f16_e32 v40, 0xbbf7, v18
	v_fmamk_f16 v41, v87, 0x39e9, v88
	v_add_f16_e32 v38, v38, v12
	v_add_f16_e32 v11, v37, v11
	v_fmamk_f16 v37, v70, 0x3b76, v109
	v_fma_f16 v42, v70, 0x2de8, -v40
	v_fmac_f16_e32 v40, 0x2de8, v70
	v_mul_f16_e32 v111, 0xb836, v31
	v_mul_f16_e32 v89, 0x3a62, v31
	v_add_f16_e32 v12, v41, v14
	v_add_f16_e32 v14, v37, v38
	v_add_f16_e32 v11, v40, v11
	v_fmamk_f16 v37, v72, 0xbacd, v111
	v_fma_f16 v38, v72, 0xb8d2, -v89
	v_fmac_f16_e32 v89, 0xb8d2, v72
	v_mul_f16_e32 v113, 0x3bf7, v32
	v_mul_f16_e32 v40, 0xb5c8, v32
	;; [unrolled: 1-line block ×3, first 2 shown]
	v_add_f16_e32 v14, v37, v14
	v_add_f16_e32 v11, v89, v11
	v_fmamk_f16 v37, v76, 0x2de8, v113
	v_fma_f16 v41, v76, 0x3b76, -v40
	v_fmac_f16_e32 v40, 0x3b76, v76
	v_mul_f16_e32 v114, 0xb964, v33
	v_mul_f16_e32 v89, 0xb1e1, v33
	v_fmamk_f16 v90, v87, 0xb8d2, v100
	v_add_f16_e32 v14, v37, v14
	v_add_f16_e32 v37, v40, v11
	v_fmamk_f16 v40, v77, 0x39e9, v114
	v_fma_f16 v125, v77, 0xbbdd, -v89
	v_fmac_f16_e32 v89, 0xbbdd, v77
	v_mul_f16_e32 v91, 0xb1e1, v13
	v_add_f16_e32 v11, v90, v16
	v_add_f16_e32 v14, v40, v14
	v_mul_f16_e32 v40, 0x35c8, v15
	v_add_f16_e32 v16, v89, v37
	v_fma_f16 v37, v71, 0xbbdd, -v91
	v_fmac_f16_e32 v91, 0xbbdd, v71
	v_mul_f16_e32 v118, 0xb1e1, v34
	v_mul_f16_e32 v90, 0x3964, v34
	v_fma_f16 v92, v69, 0x3b76, -v40
	v_add_f16_e32 v37, v37, v0
	v_add_f16_e32 v91, v91, v0
	v_fmac_f16_e32 v40, 0x3b76, v69
	v_mul_f16_e32 v101, 0xb836, v18
	v_fmamk_f16 v89, v79, 0xbbdd, v118
	v_fma_f16 v130, v79, 0x39e9, -v90
	v_fmac_f16_e32 v90, 0x39e9, v79
	v_add_f16_e32 v37, v92, v37
	v_add_f16_e32 v40, v40, v91
	v_fma_f16 v91, v70, 0xbacd, -v101
	v_fmac_f16_e32 v101, 0xbacd, v70
	v_mul_f16_e32 v92, 0x3964, v31
	v_add_f16_e32 v14, v89, v14
	v_add_f16_e32 v16, v90, v16
	;; [unrolled: 1-line block ×4, first 2 shown]
	v_fma_f16 v89, v72, 0x39e9, -v92
	v_fmac_f16_e32 v92, 0x39e9, v72
	v_mul_f16_e32 v90, 0xba62, v32
	v_mul_f16_e32 v120, 0x3b29, v35
	;; [unrolled: 1-line block ×3, first 2 shown]
	v_add_f16_e32 v37, v89, v37
	v_add_f16_e32 v40, v92, v40
	v_fma_f16 v89, v76, 0xb8d2, -v90
	v_fmac_f16_e32 v90, 0xb8d2, v76
	v_mul_f16_e32 v92, 0x3b29, v33
	v_fmamk_f16 v101, v87, 0x3722, v120
	v_fma_f16 v169, v87, 0xb461, -v91
	v_add_f16_e32 v37, v89, v37
	v_add_f16_e32 v40, v90, v40
	v_fma_f16 v89, v77, 0x3722, -v92
	v_fmac_f16_e32 v92, 0x3722, v77
	v_mul_f16_e32 v90, 0xbbb2, v34
	v_fmac_f16_e32 v91, 0xb461, v87
	v_add_f16_e32 v14, v101, v14
	v_add_f16_e32 v37, v89, v37
	;; [unrolled: 1-line block ×3, first 2 shown]
	v_fma_f16 v92, v79, 0xb461, -v90
	v_fmac_f16_e32 v90, 0xb461, v79
	v_mul_f16_e32 v101, 0x3bf7, v35
	v_mul_f16_e32 v89, 0xb5c8, v13
	v_add_f16_e32 v13, v91, v16
	v_add_f16_e32 v16, v92, v37
	v_add_f16_e32 v37, v90, v40
	v_fma_f16 v40, v87, 0x2de8, -v101
	v_fmamk_f16 v91, v71, 0x3b76, v89
	v_mul_f16_e32 v90, 0xb964, v15
	v_fmac_f16_e32 v101, 0x2de8, v87
	v_sub_f16_e32 v102, v1, v17
	v_add_f16_e32 v15, v40, v16
	v_add_f16_e32 v40, v91, v0
	v_fmamk_f16 v92, v69, 0x39e9, v90
	v_add_f16_e32 v150, v27, v56
	v_mul_f16_e32 v91, 0xb5c8, v102
	v_add_f16_e32 v16, v101, v37
	v_sub_f16_e32 v37, v25, v5
	v_mul_f16_e32 v104, 0xb964, v102
	v_add_f16_e32 v40, v92, v40
	v_fma_f16 v101, v150, 0x3b76, -v91
	v_add_f16_e32 v139, v28, v55
	v_mul_f16_e32 v92, 0xb964, v37
	v_fma_f16 v105, v150, 0x39e9, -v104
	v_mul_f16_e32 v103, 0xbbf7, v37
	v_add_f16_sdwa v101, v101, v0 dst_sel:DWORD dst_unused:UNUSED_PAD src0_sel:DWORD src1_sel:WORD_1
	v_mul_f16_e32 v115, 0xbb29, v102
	v_fma_f16 v106, v139, 0x39e9, -v92
	v_mul_f16_e32 v123, 0xbbf7, v102
	v_mul_f16_e32 v135, 0xbbb2, v102
	v_add_f16_sdwa v105, v105, v0 dst_sel:DWORD dst_unused:UNUSED_PAD src0_sel:DWORD src1_sel:WORD_1
	v_fma_f16 v110, v139, 0x2de8, -v103
	v_fma_f16 v112, v150, 0x3722, -v115
	v_add_f16_e32 v106, v106, v101
	v_mul_f16_e32 v117, 0xba62, v37
	v_fma_f16 v101, v150, 0x2de8, -v123
	v_mul_f16_e32 v144, 0xba62, v102
	v_mul_f16_e32 v124, 0xb1e1, v37
	v_fma_f16 v116, v150, 0xb461, -v135
	v_mul_f16_e32 v136, 0x3836, v37
	v_add_f16_e32 v105, v110, v105
	v_add_f16_sdwa v110, v112, v0 dst_sel:DWORD dst_unused:UNUSED_PAD src0_sel:DWORD src1_sel:WORD_1
	v_fma_f16 v112, v139, 0xb8d2, -v117
	v_add_f16_sdwa v101, v101, v0 dst_sel:DWORD dst_unused:UNUSED_PAD src0_sel:DWORD src1_sel:WORD_1
	v_fma_f16 v119, v150, 0xb8d2, -v144
	v_mul_f16_e32 v145, 0x3bb2, v37
	v_fma_f16 v121, v139, 0xbbdd, -v124
	v_add_f16_sdwa v116, v116, v0 dst_sel:DWORD dst_unused:UNUSED_PAD src0_sel:DWORD src1_sel:WORD_1
	v_fma_f16 v122, v139, 0xbacd, -v136
	v_mul_f16_e32 v127, 0xb836, v102
	v_add_f16_sdwa v119, v119, v0 dst_sel:DWORD dst_unused:UNUSED_PAD src0_sel:DWORD src1_sel:WORD_1
	v_fma_f16 v126, v139, 0xb461, -v145
	v_add_f16_e32 v110, v112, v110
	v_add_f16_e32 v112, v121, v101
	;; [unrolled: 1-line block ×3, first 2 shown]
	v_fmamk_f16 v101, v150, 0xbacd, v127
	v_mul_f16_e32 v116, 0x3b29, v37
	v_fma_f16 v122, v150, 0xbacd, -v127
	v_mul_f16_e32 v102, 0xb1e1, v102
	v_add_f16_e32 v119, v126, v119
	v_add_f16_e32 v36, v36, v0
	v_add_f16_sdwa v101, v101, v0 dst_sel:DWORD dst_unused:UNUSED_PAD src0_sel:DWORD src1_sel:WORD_1
	v_fmamk_f16 v126, v139, 0x3722, v116
	v_add_f16_sdwa v122, v122, v0 dst_sel:DWORD dst_unused:UNUSED_PAD src0_sel:DWORD src1_sel:WORD_1
	v_fma_f16 v116, v139, 0x3722, -v116
	v_fmamk_f16 v127, v150, 0xbbdd, v102
	v_add_f16_e32 v36, v39, v36
	v_add_f16_e32 v39, v126, v101
	v_mul_f16_e32 v37, 0x35c8, v37
	v_add_f16_e32 v122, v116, v122
	v_add_f16_sdwa v126, v127, v0 dst_sel:DWORD dst_unused:UNUSED_PAD src0_sel:DWORD src1_sel:WORD_1
	v_sub_f16_e32 v127, v26, v4
	v_fma_f16 v116, v150, 0xbbdd, -v102
	v_fmamk_f16 v128, v139, 0x3b76, v37
	v_mul_f16_e32 v101, 0xbb29, v18
	v_add_f16_e32 v146, v43, v54
	v_mul_f16_e32 v102, 0xbb29, v127
	v_add_f16_sdwa v18, v116, v0 dst_sel:DWORD dst_unused:UNUSED_PAD src0_sel:DWORD src1_sel:WORD_1
	v_fma_f16 v37, v139, 0x3b76, -v37
	v_mul_f16_e32 v116, 0xba62, v127
	v_fmamk_f16 v129, v70, 0x3722, v101
	v_fma_f16 v131, v146, 0x3722, -v102
	v_add_f16_e32 v128, v128, v126
	v_add_f16_e32 v18, v37, v18
	v_fma_f16 v37, v146, 0xb8d2, -v116
	v_mul_f16_e32 v126, 0x31e1, v127
	v_add_f16_e32 v40, v129, v40
	v_add_f16_e32 v129, v131, v106
	v_mul_f16_e32 v132, 0x3bb2, v127
	v_add_f16_e32 v37, v37, v105
	v_fma_f16 v105, v146, 0xbbdd, -v126
	v_mul_f16_e32 v131, 0xbbf7, v127
	v_mul_f16_e32 v142, 0x3964, v127
	v_fma_f16 v106, v146, 0xb461, -v132
	v_mul_f16_e32 v153, 0xb5c8, v127
	v_add_f16_e32 v110, v105, v110
	v_fmamk_f16 v105, v146, 0x2de8, v131
	v_fma_f16 v133, v146, 0x39e9, -v142
	v_add_f16_e32 v112, v106, v112
	v_fma_f16 v106, v146, 0x2de8, -v131
	v_add_f16_e32 v36, v42, v36
	v_add_f16_e32 v39, v105, v39
	v_sub_f16_e32 v42, v21, v3
	v_mul_f16_e32 v127, 0xb836, v127
	v_mul_f16_e32 v105, 0xbbf7, v31
	v_fma_f16 v134, v146, 0x3b76, -v153
	v_add_f16_e32 v121, v133, v121
	v_add_f16_e32 v133, v106, v122
	;; [unrolled: 1-line block ×3, first 2 shown]
	v_mul_f16_e32 v106, 0xbbf7, v42
	v_fmamk_f16 v31, v146, 0xbacd, v127
	v_fma_f16 v127, v146, 0xbacd, -v127
	v_mul_f16_e32 v122, 0xb1e1, v42
	v_fmamk_f16 v131, v72, 0x2de8, v105
	v_add_f16_e32 v119, v134, v119
	v_fma_f16 v134, v148, 0x2de8, -v106
	v_add_f16_e32 v18, v127, v18
	v_fma_f16 v127, v148, 0xbbdd, -v122
	v_add_f16_e32 v40, v131, v40
	v_mul_f16_e32 v131, 0x3bb2, v42
	v_add_f16_e32 v31, v31, v128
	v_add_f16_e32 v128, v134, v129
	v_mul_f16_e32 v137, 0x35c8, v42
	v_add_f16_e32 v37, v127, v37
	v_fma_f16 v127, v148, 0xb461, -v131
	v_mul_f16_e32 v134, 0x3a62, v42
	v_mul_f16_e32 v149, 0xbb29, v42
	v_fma_f16 v129, v148, 0x3b76, -v137
	v_add_f16_e32 v36, v38, v36
	v_add_f16_e32 v127, v127, v110
	v_fmamk_f16 v110, v148, 0xb8d2, v134
	v_mul_f16_e32 v158, 0xb836, v42
	v_add_f16_e32 v143, v129, v112
	v_fma_f16 v112, v148, 0xb8d2, -v134
	v_fma_f16 v138, v148, 0x3722, -v149
	v_add_f16_e32 v38, v110, v39
	v_sub_f16_e32 v39, v22, v2
	v_mul_f16_e32 v42, 0x3964, v42
	v_add_f16_e32 v133, v112, v133
	v_mul_f16_e32 v110, 0xbbb2, v32
	v_add_f16_e32 v152, v45, v52
	v_mul_f16_e32 v112, 0xbbb2, v39
	v_fma_f16 v140, v148, 0xbacd, -v158
	v_add_f16_e32 v121, v138, v121
	v_fmamk_f16 v32, v148, 0x39e9, v42
	v_fma_f16 v42, v148, 0x39e9, -v42
	v_mul_f16_e32 v129, 0x3836, v39
	v_fmamk_f16 v134, v76, 0xb461, v110
	v_fma_f16 v138, v152, 0xb461, -v112
	v_mul_f16_e32 v162, 0x3bf7, v39
	v_add_f16_e32 v119, v140, v119
	v_add_f16_e32 v31, v32, v31
	;; [unrolled: 1-line block ×3, first 2 shown]
	v_fma_f16 v32, v152, 0xbacd, -v129
	v_add_f16_e32 v40, v134, v40
	v_add_f16_e32 v42, v138, v128
	v_mul_f16_e32 v138, 0x3964, v39
	v_mul_f16_e32 v141, 0xbb29, v39
	;; [unrolled: 1-line block ×4, first 2 shown]
	v_fma_f16 v147, v152, 0x2de8, -v162
	v_add_f16_e32 v32, v32, v37
	v_fma_f16 v37, v152, 0x39e9, -v138
	v_fma_f16 v128, v152, 0x3722, -v141
	;; [unrolled: 1-line block ×3, first 2 shown]
	v_add_f16_e32 v151, v147, v119
	v_fma_f16 v119, v152, 0x3b76, -v134
	v_add_f16_e32 v36, v41, v36
	v_sub_f16_e32 v41, v23, v7
	v_add_f16_e32 v37, v37, v127
	v_add_f16_e32 v127, v128, v143
	v_fmamk_f16 v128, v152, 0x3b76, v134
	v_add_f16_e32 v140, v140, v121
	v_mul_f16_e32 v39, 0xba62, v39
	v_add_f16_e32 v133, v119, v133
	v_mul_f16_e32 v119, 0xba62, v33
	;; [unrolled: 2-line block ×3, first 2 shown]
	v_add_f16_e32 v38, v128, v38
	v_fmamk_f16 v33, v152, 0xb8d2, v39
	v_fma_f16 v39, v152, 0xb8d2, -v39
	v_fmamk_f16 v134, v77, 0xb8d2, v119
	v_mul_f16_e32 v128, 0x3bb2, v41
	v_fma_f16 v143, v157, 0xb8d2, -v121
	v_add_f16_e32 v31, v33, v31
	v_add_f16_e32 v18, v39, v18
	;; [unrolled: 1-line block ×3, first 2 shown]
	v_fma_f16 v39, v157, 0xb461, -v128
	v_add_f16_e32 v40, v143, v42
	v_mul_f16_e32 v143, 0xb5c8, v41
	v_mul_f16_e32 v147, 0xb836, v41
	;; [unrolled: 1-line block ×4, first 2 shown]
	v_add_f16_e32 v32, v39, v32
	v_fma_f16 v39, v157, 0x3b76, -v143
	v_fma_f16 v42, v157, 0xbacd, -v147
	;; [unrolled: 1-line block ×3, first 2 shown]
	v_mul_f16_e32 v155, 0xb1e1, v41
	v_fma_f16 v156, v157, 0x39e9, -v166
	v_add_f16_e32 v37, v39, v37
	v_add_f16_e32 v39, v42, v127
	;; [unrolled: 1-line block ×3, first 2 shown]
	v_fmamk_f16 v127, v157, 0xbbdd, v155
	v_add_f16_e32 v140, v156, v151
	v_add_f16_e32 v36, v125, v36
	v_mul_f16_e32 v41, 0x3b29, v41
	v_sub_f16_e32 v156, v24, v6
	v_mul_f16_e32 v125, 0xb836, v34
	v_fma_f16 v134, v157, 0xbbdd, -v155
	v_add_f16_e32 v38, v127, v38
	v_fmamk_f16 v34, v157, 0x3722, v41
	v_add_f16_e32 v161, v47, v50
	v_mul_f16_e32 v127, 0xb836, v156
	v_fmamk_f16 v151, v79, 0xbacd, v125
	v_add_f16_e32 v133, v134, v133
	v_fma_f16 v41, v157, 0x3722, -v41
	v_add_f16_e32 v31, v34, v31
	v_mul_f16_e32 v134, 0x3b29, v156
	v_fma_f16 v34, v161, 0xbacd, -v127
	v_add_f16_e32 v33, v151, v33
	v_mul_f16_e32 v151, 0xbbf7, v156
	v_add_f16_e32 v18, v41, v18
	v_fma_f16 v41, v161, 0x3722, -v134
	v_add_f16_e32 v34, v34, v40
	v_mul_f16_e32 v155, 0x3a62, v156
	v_fma_f16 v40, v161, 0x2de8, -v151
	v_mul_f16_e32 v163, 0xb5c8, v156
	v_add_f16_e32 v41, v41, v32
	v_mul_f16_e32 v167, 0xb1e1, v156
	v_fma_f16 v32, v161, 0xb8d2, -v155
	v_add_f16_e32 v37, v40, v37
	v_mul_f16_e32 v40, 0x3964, v156
	v_add_f16_e32 v171, v130, v36
	v_fma_f16 v164, v161, 0xbbdd, -v167
	v_add_f16_e32 v39, v32, v39
	v_mul_f16_e32 v32, 0xbbb2, v156
	v_fmamk_f16 v156, v161, 0x39e9, v40
	v_fma_f16 v40, v161, 0x39e9, -v40
	v_mul_f16_e32 v130, 0xb1e1, v35
	v_fma_f16 v160, v161, 0x3b76, -v163
	v_add_f16_e32 v170, v164, v140
	v_add_f16_e32 v172, v156, v38
	v_sub_f16_e32 v38, v19, v20
	v_fmamk_f16 v36, v161, 0xb461, v32
	v_add_f16_e32 v40, v40, v133
	v_fma_f16 v32, v161, 0xb461, -v32
	v_fmamk_f16 v35, v87, 0xbbdd, v130
	v_add_f16_e32 v164, v48, v49
	v_mul_f16_e32 v133, 0xb1e1, v38
	v_mul_f16_e32 v140, 0x35c8, v38
	v_add_f16_e32 v42, v160, v42
	v_add_f16_e32 v18, v32, v18
	v_mul_f16_e32 v156, 0xb836, v38
	v_add_f16_e32 v32, v35, v33
	v_fma_f16 v33, v164, 0xbbdd, -v133
	v_fma_f16 v35, v164, 0x3b76, -v140
	v_mul_f16_e32 v160, 0x3964, v38
	v_add_f16_e32 v31, v36, v31
	v_fma_f16 v36, v164, 0xbacd, -v156
	v_mul_f16_e32 v165, 0xba62, v38
	v_add_f16_e32 v33, v33, v34
	v_add_f16_e32 v34, v35, v41
	v_fma_f16 v41, v164, 0x39e9, -v160
	v_mul_f16_e32 v168, 0x3b29, v38
	v_mul_f16_e32 v173, 0xbbb2, v38
	;; [unrolled: 1-line block ×3, first 2 shown]
	v_add_f16_e32 v35, v36, v37
	v_fma_f16 v37, v164, 0xb8d2, -v165
	v_add_f16_e32 v36, v41, v39
	v_fma_f16 v39, v164, 0x3722, -v168
	v_fmamk_f16 v41, v164, 0xb461, v173
	v_fma_f16 v173, v164, 0xb461, -v173
	v_fmamk_f16 v174, v164, 0x2de8, v38
	v_fma_f16 v175, v164, 0x2de8, -v38
	v_add_f16_e32 v37, v37, v42
	v_add_f16_e32 v38, v39, v170
	;; [unrolled: 1-line block ×7, first 2 shown]
	v_mul_lo_u16 v31, v30, 17
	s_barrier
	buffer_gl0_inv
	s_and_saveexec_b32 s4, vcc_lo
	s_cbranch_execz .LBB0_7
; %bb.6:
	v_mul_f16_e32 v170, 0x3b76, v150
	v_mul_f16_e32 v172, 0x39e9, v150
	;; [unrolled: 1-line block ×10, first 2 shown]
	v_add_f16_e32 v144, v144, v150
	v_mul_f16_e32 v150, 0xb461, v139
	v_mul_f16_e32 v177, 0xb461, v71
	;; [unrolled: 1-line block ×4, first 2 shown]
	v_add_f16_sdwa v144, v144, v0 dst_sel:DWORD dst_unused:UNUSED_PAD src0_sel:DWORD src1_sel:WORD_1
	v_add_f16_e32 v145, v145, v150
	v_mul_f16_e32 v150, 0x3b76, v146
	v_mul_f16_e32 v179, 0x39e9, v69
	;; [unrolled: 1-line block ×4, first 2 shown]
	v_add_f16_e32 v144, v145, v144
	v_add_f16_e32 v145, v153, v150
	v_mul_f16_e32 v185, 0xbbdd, v69
	v_mul_f16_e32 v187, 0xbacd, v69
	;; [unrolled: 1-line block ×3, first 2 shown]
	v_sub_f16_e32 v71, v71, v107
	v_add_f16_e32 v144, v145, v144
	v_add_f16_e32 v158, v158, v189
	v_mul_f16_e32 v189, 0x2de8, v152
	v_sub_f16_e32 v69, v69, v108
	v_add_f16_e32 v71, v71, v0
	v_mul_f16_e32 v180, 0x39e9, v139
	v_add_f16_e32 v144, v158, v144
	v_mul_f16_e32 v158, 0x3b76, v70
	v_add_f16_e32 v162, v162, v189
	v_add_f16_e32 v69, v69, v71
	v_mul_f16_e32 v182, 0x2de8, v139
	v_mul_f16_e32 v184, 0xb8d2, v139
	v_sub_f16_e32 v109, v158, v109
	v_mul_f16_e32 v158, 0x39e9, v157
	v_add_f16_e32 v144, v162, v144
	v_mul_f16_e32 v162, 0xbacd, v72
	v_mul_f16_e32 v186, 0xbbdd, v139
	v_add_f16_e32 v69, v109, v69
	v_add_f16_e32 v158, v166, v158
	v_mul_f16_e32 v109, 0xbbdd, v161
	v_sub_f16_e32 v111, v162, v111
	v_mul_f16_e32 v139, 0xbacd, v139
	v_sub_f16_e32 v62, v173, v62
	v_add_f16_e32 v144, v158, v144
	v_mul_f16_e32 v158, 0x2de8, v76
	v_add_f16_e32 v109, v167, v109
	v_add_f16_e32 v69, v111, v69
	v_add_f16_e32 v136, v136, v139
	v_mul_f16_e32 v139, 0xbbdd, v79
	v_sub_f16_e32 v113, v158, v113
	v_add_f16_e32 v109, v109, v144
	v_mul_f16_e32 v144, 0x39e9, v77
	v_mul_f16_e32 v107, 0xbbdd, v70
	;; [unrolled: 1-line block ×3, first 2 shown]
	v_add_f16_e32 v69, v113, v69
	v_sub_f16_e32 v118, v139, v118
	v_sub_f16_e32 v114, v144, v114
	v_add_f16_e32 v62, v62, v0
	v_sub_f16_e32 v61, v183, v61
	v_add_f16_e32 v111, v168, v111
	v_mul_f16_e32 v168, 0xb461, v72
	v_add_f16_e32 v69, v114, v69
	v_add_f16_e32 v135, v135, v178
	;; [unrolled: 1-line block ×3, first 2 shown]
	v_sub_f16_e32 v62, v107, v63
	v_mul_f16_e32 v153, 0x3722, v146
	v_add_f16_e32 v69, v118, v69
	v_mul_f16_e32 v118, 0x3722, v87
	v_mul_f16_e32 v145, 0xb8d2, v146
	;; [unrolled: 1-line block ×5, first 2 shown]
	v_add_f16_sdwa v135, v135, v0 dst_sel:DWORD dst_unused:UNUSED_PAD src0_sel:DWORD src1_sel:WORD_1
	v_add_f16_e32 v109, v111, v109
	v_mul_f16_e32 v111, 0x39e9, v76
	v_sub_f16_e32 v118, v118, v120
	v_add_f16_e32 v61, v62, v61
	v_sub_f16_e32 v62, v168, v67
	v_add_f16_e32 v67, v104, v172
	v_mul_f16_e32 v162, 0x2de8, v148
	v_mul_f16_e32 v158, 0xbbdd, v148
	;; [unrolled: 1-line block ×5, first 2 shown]
	v_add_f16_e32 v135, v136, v135
	v_add_f16_e32 v142, v142, v146
	v_sub_f16_e32 v93, v177, v93
	v_add_f16_e32 v69, v118, v69
	v_mul_f16_e32 v118, 0x3b76, v77
	v_sub_f16_e32 v57, v171, v57
	v_add_f16_e32 v61, v62, v61
	v_sub_f16_e32 v62, v111, v66
	v_add_f16_sdwa v66, v67, v0 dst_sel:DWORD dst_unused:UNUSED_PAD src0_sel:DWORD src1_sel:WORD_1
	v_add_f16_e32 v67, v103, v182
	v_mul_f16_e32 v150, 0x3722, v70
	v_mul_f16_e32 v188, 0xb8d2, v70
	v_mul_f16_e32 v189, 0xb461, v70
	v_mul_f16_e32 v70, 0x39e9, v70
	v_mul_f16_e32 v139, 0xb461, v152
	v_mul_f16_e32 v146, 0xbacd, v152
	v_add_f16_e32 v135, v142, v135
	v_mul_f16_e32 v142, 0x39e9, v152
	v_add_f16_e32 v148, v149, v148
	v_mul_f16_e32 v120, 0x3722, v152
	v_mul_f16_e32 v152, 0xbbdd, v152
	v_sub_f16_e32 v95, v187, v95
	v_add_f16_e32 v93, v93, v0
	v_add_f16_e32 v57, v57, v0
	v_sub_f16_e32 v59, v181, v59
	v_add_f16_e32 v61, v62, v61
	v_sub_f16_e32 v62, v118, v73
	v_add_f16_e32 v66, v67, v66
	v_add_f16_e32 v67, v116, v145
	v_mul_f16_e32 v166, 0x2de8, v72
	v_mul_f16_e32 v167, 0xbbdd, v72
	;; [unrolled: 1-line block ×4, first 2 shown]
	v_add_f16_e32 v135, v148, v135
	v_add_f16_e32 v152, v154, v152
	;; [unrolled: 1-line block ×3, first 2 shown]
	v_mul_f16_e32 v95, 0x2de8, v157
	v_sub_f16_e32 v70, v70, v96
	v_add_f16_e32 v57, v59, v57
	v_sub_f16_e32 v58, v188, v58
	v_add_f16_e32 v59, v62, v61
	v_add_f16_e32 v62, v67, v66
	;; [unrolled: 1-line block ×3, first 2 shown]
	v_add_f16_sdwa v56, v56, v0 dst_sel:DWORD dst_unused:UNUSED_PAD src0_sel:DWORD src1_sel:WORD_1
	v_add_f16_e32 v1, v1, v0
	v_mul_f16_e32 v114, 0xb461, v76
	v_mul_f16_e32 v136, 0xbacd, v76
	;; [unrolled: 1-line block ×5, first 2 shown]
	v_add_f16_e32 v135, v152, v135
	v_add_f16_e32 v95, v159, v95
	;; [unrolled: 1-line block ×3, first 2 shown]
	v_mul_f16_e32 v93, 0x3b76, v161
	v_sub_f16_e32 v72, v72, v98
	v_add_f16_e32 v57, v58, v57
	v_sub_f16_e32 v58, v167, v64
	v_add_f16_e32 v62, v66, v62
	v_add_f16_e32 v64, v129, v146
	;; [unrolled: 1-line block ×4, first 2 shown]
	v_mul_f16_e32 v148, 0xb8d2, v77
	v_mul_f16_e32 v154, 0xb461, v77
	;; [unrolled: 1-line block ×4, first 2 shown]
	v_add_f16_e32 v95, v95, v135
	v_add_f16_e32 v93, v163, v93
	v_mul_f16_e32 v163, 0x3722, v161
	v_add_f16_e32 v70, v72, v70
	v_sub_f16_e32 v76, v76, v99
	v_add_f16_e32 v57, v58, v57
	v_sub_f16_e32 v58, v136, v60
	v_add_f16_e32 v60, v64, v62
	v_add_f16_e32 v62, v128, v187
	;; [unrolled: 1-line block ×4, first 2 shown]
	v_mul_f16_e32 v159, 0xbacd, v79
	v_mul_f16_e32 v135, 0x3722, v79
	;; [unrolled: 1-line block ×3, first 2 shown]
	v_add_f16_e32 v93, v93, v95
	v_mul_f16_e32 v95, 0xb8d2, v79
	v_mul_f16_e32 v79, 0x3b76, v79
	v_add_f16_e32 v70, v76, v70
	v_sub_f16_e32 v77, v77, v94
	v_add_f16_e32 v124, v124, v186
	v_mul_f16_e32 v186, 0x3b76, v164
	v_add_f16_e32 v25, v58, v57
	v_sub_f16_e32 v56, v154, v65
	v_add_f16_e32 v57, v62, v60
	v_add_f16_e32 v26, v134, v163
	;; [unrolled: 1-line block ×4, first 2 shown]
	v_mul_f16_e32 v94, 0x3b76, v87
	v_add_f16_e32 v70, v77, v70
	v_sub_f16_e32 v79, v79, v97
	v_add_f16_e32 v71, v132, v71
	v_mul_f16_e32 v132, 0xb8d2, v87
	v_add_f16_e32 v25, v56, v25
	v_sub_f16_e32 v55, v135, v68
	v_add_f16_e32 v21, v26, v57
	v_add_f16_e32 v26, v140, v186
	v_add_f16_e32 v52, v52, v53
	v_add_f16_e32 v1, v22, v1
	v_add_f16_e32 v70, v79, v70
	v_sub_f16_e32 v79, v132, v100
	v_add_f16_e32 v25, v55, v25
	v_sub_f16_e32 v22, v94, v75
	v_add_f16_e32 v21, v26, v21
	v_add_f16_e32 v26, v91, v170
	v_add_f16_e32 v51, v51, v52
	v_add_f16_e32 v1, v23, v1
	v_add_f16_e32 v123, v123, v176
	v_sub_f16_e32 v84, v175, v84
	v_add_f16_e32 v70, v79, v70
	v_add_f16_e32 v79, v115, v174
	v_add_f16_e32 v22, v22, v25
	v_sub_f16_e32 v23, v169, v89
	v_add_f16_sdwa v25, v26, v0 dst_sel:DWORD dst_unused:UNUSED_PAD src0_sel:DWORD src1_sel:WORD_1
	v_add_f16_e32 v26, v50, v51
	v_add_f16_e32 v1, v24, v1
	v_add_f16_sdwa v123, v123, v0 dst_sel:DWORD dst_unused:UNUSED_PAD src0_sel:DWORD src1_sel:WORD_1
	v_add_f16_e32 v84, v84, v0
	v_add_f16_sdwa v79, v79, v0 dst_sel:DWORD dst_unused:UNUSED_PAD src0_sel:DWORD src1_sel:WORD_1
	v_add_f16_e32 v0, v23, v0
	v_sub_f16_e32 v23, v179, v90
	v_add_f16_e32 v26, v49, v26
	v_add_f16_e32 v1, v19, v1
	v_add_f16_e32 v24, v92, v180
	v_sub_f16_e32 v80, v185, v80
	v_add_f16_e32 v0, v23, v0
	v_add_f16_e32 v23, v48, v26
	v_add_f16_e32 v1, v20, v1
	v_add_f16_e32 v115, v117, v184
	v_sub_f16_e32 v20, v150, v101
	v_add_f16_e32 v19, v24, v25
	v_add_f16_e32 v23, v47, v23
	;; [unrolled: 1-line block ×6, first 2 shown]
	v_sub_f16_e32 v81, v189, v81
	v_add_f16_e32 v79, v115, v79
	v_add_f16_e32 v84, v126, v108
	;; [unrolled: 1-line block ×3, first 2 shown]
	v_sub_f16_e32 v6, v166, v105
	v_add_f16_e32 v20, v46, v23
	v_add_f16_e32 v1, v7, v1
	;; [unrolled: 1-line block ×7, first 2 shown]
	v_sub_f16_e32 v81, v144, v82
	v_add_f16_e32 v79, v84, v79
	v_add_f16_e32 v82, v131, v113
	;; [unrolled: 1-line block ×3, first 2 shown]
	v_sub_f16_e32 v6, v114, v110
	v_add_f16_e32 v20, v45, v20
	v_add_f16_e32 v1, v2, v1
	v_mul_f16_e32 v177, 0xb8d2, v157
	v_add_f16_e32 v19, v24, v19
	v_add_f16_e32 v7, v112, v139
	v_mul_f16_e32 v152, 0x3b76, v157
	v_mul_f16_e32 v157, 0xbacd, v157
	v_add_f16_e32 v71, v100, v71
	v_add_f16_e32 v100, v141, v120
	;; [unrolled: 1-line block ×3, first 2 shown]
	v_sub_f16_e32 v81, v149, v85
	v_add_f16_e32 v79, v82, v79
	v_add_f16_e32 v82, v138, v142
	;; [unrolled: 1-line block ×5, first 2 shown]
	v_mul_f16_e32 v98, 0xbacd, v161
	v_add_f16_e32 v2, v7, v19
	v_add_f16_e32 v7, v121, v177
	v_sub_f16_e32 v3, v148, v119
	v_mul_f16_e32 v99, 0x2de8, v161
	v_mul_f16_e32 v161, 0xb8d2, v161
	v_add_f16_e32 v71, v100, v71
	v_add_f16_e32 v100, v147, v157
	;; [unrolled: 1-line block ×3, first 2 shown]
	v_sub_f16_e32 v81, v96, v83
	v_add_f16_e32 v79, v82, v79
	v_add_f16_e32 v82, v143, v152
	;; [unrolled: 1-line block ×4, first 2 shown]
	v_mul_f16_e32 v76, 0xbbdd, v87
	v_mul_f16_e32 v176, 0xbbdd, v164
	v_add_f16_e32 v2, v7, v2
	v_add_f16_e32 v7, v127, v98
	;; [unrolled: 1-line block ×3, first 2 shown]
	v_sub_f16_e32 v3, v159, v125
	v_mul_f16_e32 v77, 0xbacd, v87
	v_mul_f16_e32 v97, 0xbacd, v164
	;; [unrolled: 1-line block ×5, first 2 shown]
	v_add_f16_e32 v71, v100, v71
	v_add_f16_e32 v100, v155, v161
	v_add_f16_e32 v80, v81, v80
	v_sub_f16_e32 v81, v95, v86
	v_add_f16_e32 v79, v82, v79
	v_add_f16_e32 v82, v151, v99
	v_sub_f16_e32 v61, v72, v74
	v_add_f16_e32 v4, v28, v6
	v_add_f16_e32 v1, v5, v1
	;; [unrolled: 1-line block ×5, first 2 shown]
	v_sub_f16_e32 v3, v76, v130
	v_add_f16_e32 v71, v100, v71
	v_add_f16_e32 v84, v160, v164
	;; [unrolled: 1-line block ×3, first 2 shown]
	v_sub_f16_e32 v80, v87, v88
	v_add_f16_e32 v79, v82, v79
	v_add_f16_e32 v81, v156, v97
	;; [unrolled: 1-line block ×3, first 2 shown]
	v_sub_f16_e32 v61, v77, v78
	v_add_f16_e32 v124, v165, v124
	v_add_f16_sdwa v4, v27, v4 dst_sel:WORD_1 dst_unused:UNUSED_PAD src0_sel:DWORD src1_sel:DWORD
	v_add_f16_e32 v1, v17, v1
	v_mov_b32_e32 v6, 2
	v_add_f16_e32 v2, v5, v2
	v_add_f16_e32 v0, v3, v0
	;; [unrolled: 1-line block ×7, first 2 shown]
	v_or_b32_sdwa v1, v4, v1 dst_sel:DWORD dst_unused:UNUSED_PAD src0_sel:DWORD src1_sel:WORD_0
	v_lshlrev_b32_sdwa v4, v6, v31 dst_sel:DWORD dst_unused:UNUSED_PAD src0_sel:DWORD src1_sel:WORD_0
	v_pack_b32_f16 v5, v22, v21
	v_pack_b32_f16 v0, v0, v2
	;; [unrolled: 1-line block ×6, first 2 shown]
	ds_write_b32 v4, v1
	ds_write2_b32 v4, v0, v5 offset0:1 offset1:2
	ds_write2_b32 v4, v3, v2 offset0:3 offset1:4
	;; [unrolled: 1-line block ×3, first 2 shown]
	v_perm_b32 v0, v41, v15, 0x5040100
	v_perm_b32 v1, v42, v18, 0x5040100
	;; [unrolled: 1-line block ×10, first 2 shown]
	ds_write2_b32 v4, v1, v0 offset0:7 offset1:8
	ds_write2_b32 v4, v3, v2 offset0:9 offset1:10
	;; [unrolled: 1-line block ×5, first 2 shown]
.LBB0_7:
	s_or_b32 exec_lo, exec_lo, s4
	v_and_b32_e32 v0, 0xff, v30
	s_load_dwordx4 s[4:7], s[2:3], 0x0
	s_waitcnt lgkmcnt(0)
	s_barrier
	buffer_gl0_inv
	v_mul_lo_u16 v0, 0xf1, v0
	v_add_nc_u32_e32 v51, 0x200, v29
	v_add_nc_u32_e32 v50, 0x600, v29
	v_mov_b32_e32 v27, 0x77
	v_mad_u64_u32 v[23:24], null, v30, 24, s[0:1]
	v_lshrrev_b16 v17, 12, v0
	v_mul_lo_u16 v0, v17, 17
	v_mul_u32_u24_sdwa v17, v17, v27 dst_sel:DWORD dst_unused:UNUSED_PAD src0_sel:WORD_0 src1_sel:DWORD
	v_sub_nc_u16 v0, v30, v0
	v_and_b32_e32 v25, 0xff, v0
	v_mul_u32_u24_e32 v0, 6, v25
	v_add_lshl_u32 v43, v17, v25, 2
	v_lshlrev_b32_e32 v4, 2, v0
	s_clause 0x1
	global_load_dwordx4 v[0:3], v4, s[0:1]
	global_load_dwordx2 v[19:20], v4, s[0:1] offset:16
	ds_read2_b32 v[4:5], v29 offset1:119
	ds_read_b32 v26, v29 offset:2856
	ds_read2_b32 v[6:7], v51 offset0:110 offset1:229
	ds_read2_b32 v[21:22], v50 offset0:92 offset1:211
	s_waitcnt vmcnt(0) lgkmcnt(0)
	s_barrier
	buffer_gl0_inv
	v_lshrrev_b32_e32 v27, 16, v5
	v_lshrrev_b32_e32 v28, 16, v26
	;; [unrolled: 1-line block ×6, first 2 shown]
	v_mul_f16_sdwa v17, v27, v0 dst_sel:DWORD dst_unused:UNUSED_PAD src0_sel:DWORD src1_sel:WORD_1
	v_mul_f16_sdwa v25, v5, v0 dst_sel:DWORD dst_unused:UNUSED_PAD src0_sel:DWORD src1_sel:WORD_1
	v_mul_f16_sdwa v48, v44, v1 dst_sel:DWORD dst_unused:UNUSED_PAD src0_sel:DWORD src1_sel:WORD_1
	v_mul_f16_sdwa v49, v6, v1 dst_sel:DWORD dst_unused:UNUSED_PAD src0_sel:DWORD src1_sel:WORD_1
	v_mul_f16_sdwa v54, v46, v3 dst_sel:DWORD dst_unused:UNUSED_PAD src0_sel:DWORD src1_sel:WORD_1
	v_mul_f16_sdwa v56, v47, v19 dst_sel:DWORD dst_unused:UNUSED_PAD src0_sel:DWORD src1_sel:WORD_1
	v_mul_f16_sdwa v57, v22, v19 dst_sel:DWORD dst_unused:UNUSED_PAD src0_sel:DWORD src1_sel:WORD_1
	v_mul_f16_sdwa v58, v28, v20 dst_sel:DWORD dst_unused:UNUSED_PAD src0_sel:DWORD src1_sel:WORD_1
	v_mul_f16_sdwa v59, v26, v20 dst_sel:DWORD dst_unused:UNUSED_PAD src0_sel:DWORD src1_sel:WORD_1
	v_mul_f16_sdwa v52, v45, v2 dst_sel:DWORD dst_unused:UNUSED_PAD src0_sel:DWORD src1_sel:WORD_1
	v_mul_f16_sdwa v53, v7, v2 dst_sel:DWORD dst_unused:UNUSED_PAD src0_sel:DWORD src1_sel:WORD_1
	v_mul_f16_sdwa v55, v21, v3 dst_sel:DWORD dst_unused:UNUSED_PAD src0_sel:DWORD src1_sel:WORD_1
	v_fma_f16 v5, v5, v0, -v17
	v_fmac_f16_e32 v25, v27, v0
	v_fma_f16 v6, v6, v1, -v48
	v_fmac_f16_e32 v49, v44, v1
	v_fma_f16 v17, v21, v3, -v54
	v_fma_f16 v21, v26, v20, -v58
	v_fmac_f16_e32 v59, v28, v20
	v_fma_f16 v22, v22, v19, -v56
	v_fmac_f16_e32 v57, v47, v19
	;; [unrolled: 2-line block ×3, first 2 shown]
	v_fmac_f16_e32 v55, v46, v3
	v_add_f16_e32 v26, v5, v21
	v_add_f16_e32 v27, v25, v59
	v_sub_f16_e32 v5, v5, v21
	v_sub_f16_e32 v21, v25, v59
	v_add_f16_e32 v25, v6, v22
	v_add_f16_e32 v28, v49, v57
	v_sub_f16_e32 v6, v6, v22
	v_add_f16_e32 v44, v7, v17
	v_add_f16_e32 v45, v53, v55
	;; [unrolled: 3-line block ×3, first 2 shown]
	v_sub_f16_e32 v22, v49, v57
	v_sub_f16_e32 v17, v55, v53
	;; [unrolled: 1-line block ×8, first 2 shown]
	v_add_f16_e32 v52, v7, v6
	v_sub_f16_e32 v54, v7, v6
	v_sub_f16_e32 v6, v6, v5
	v_add_f16_e32 v44, v44, v46
	v_add_f16_e32 v45, v45, v47
	;; [unrolled: 1-line block ×3, first 2 shown]
	v_sub_f16_e32 v55, v17, v22
	v_sub_f16_e32 v7, v5, v7
	;; [unrolled: 1-line block ×3, first 2 shown]
	v_add_f16_e32 v5, v52, v5
	v_mul_f16_e32 v26, 0x3a52, v26
	v_mul_f16_e32 v46, 0x2b26, v25
	;; [unrolled: 1-line block ×4, first 2 shown]
	v_add_f16_e32 v56, v44, v4
	v_add_f16_sdwa v4, v45, v4 dst_sel:DWORD dst_unused:UNUSED_PAD src0_sel:DWORD src1_sel:WORD_1
	v_sub_f16_e32 v17, v21, v17
	v_add_f16_e32 v21, v53, v21
	v_mul_f16_e32 v27, 0x3a52, v27
	v_mul_f16_e32 v47, 0x2b26, v28
	;; [unrolled: 1-line block ×4, first 2 shown]
	v_fmamk_f16 v25, v25, 0x2b26, v26
	v_fma_f16 v46, v48, 0x39e0, -v46
	v_fma_f16 v26, v48, 0xb9e0, -v26
	v_fmamk_f16 v48, v7, 0x3574, v52
	v_fma_f16 v6, v6, 0x3b00, -v52
	v_fma_f16 v7, v7, 0xb574, -v54
	v_lshlrev_b32_e32 v52, 16, v4
	v_fmamk_f16 v28, v28, 0x2b26, v27
	v_fma_f16 v47, v49, 0x39e0, -v47
	v_fma_f16 v27, v49, 0xb9e0, -v27
	v_fmamk_f16 v49, v17, 0x3574, v53
	v_fma_f16 v22, v22, 0x3b00, -v53
	v_fma_f16 v17, v17, 0xb574, -v55
	v_fmac_f16_e32 v4, 0xbcab, v45
	v_fmac_f16_e32 v48, 0x370e, v5
	v_fmac_f16_e32 v6, 0x370e, v5
	v_fmac_f16_e32 v7, 0x370e, v5
	v_or_b32_sdwa v5, v52, v56 dst_sel:DWORD dst_unused:UNUSED_PAD src0_sel:DWORD src1_sel:WORD_0
	v_fmac_f16_e32 v56, 0xbcab, v44
	v_fmac_f16_e32 v49, 0x370e, v21
	;; [unrolled: 1-line block ×4, first 2 shown]
	v_add_f16_e32 v21, v28, v4
	v_add_f16_e32 v28, v47, v4
	;; [unrolled: 1-line block ×6, first 2 shown]
	v_sub_f16_e32 v44, v21, v48
	v_sub_f16_e32 v45, v4, v7
	v_add_f16_e32 v4, v7, v4
	v_add_f16_e32 v7, v48, v21
	;; [unrolled: 1-line block ×4, first 2 shown]
	v_sub_f16_e32 v6, v28, v6
	v_add_f16_e32 v28, v17, v26
	v_sub_f16_e32 v47, v27, v22
	v_add_f16_e32 v22, v22, v27
	v_sub_f16_e32 v17, v26, v17
	v_sub_f16_e32 v25, v25, v49
	v_pack_b32_f16 v21, v21, v44
	v_pack_b32_f16 v26, v28, v45
	;; [unrolled: 1-line block ×6, first 2 shown]
	ds_write2_b32 v43, v5, v21 offset1:17
	ds_write2_b32 v43, v26, v27 offset0:34 offset1:51
	ds_write2_b32 v43, v6, v4 offset0:68 offset1:85
	ds_write_b32 v43, v7 offset:408
	s_waitcnt lgkmcnt(0)
	s_barrier
	buffer_gl0_inv
	s_clause 0x1
	global_load_dwordx4 v[4:7], v[23:24], off offset:408
	global_load_dwordx2 v[21:22], v[23:24], off offset:424
	ds_read2_b32 v[23:24], v29 offset1:119
	ds_read2_b32 v[25:26], v51 offset0:110 offset1:229
	ds_read2_b32 v[27:28], v50 offset0:92 offset1:211
	ds_read_b32 v17, v29 offset:2856
	s_waitcnt lgkmcnt(3)
	v_lshrrev_b32_e32 v44, 16, v24
	s_waitcnt lgkmcnt(2)
	v_lshrrev_b32_e32 v45, 16, v25
	;; [unrolled: 2-line block ×4, first 2 shown]
	v_lshrrev_b32_e32 v46, 16, v26
	v_lshrrev_b32_e32 v47, 16, v27
	s_waitcnt vmcnt(1)
	v_mul_f16_sdwa v53, v24, v4 dst_sel:DWORD dst_unused:UNUSED_PAD src0_sel:DWORD src1_sel:WORD_1
	v_mul_f16_sdwa v55, v25, v5 dst_sel:DWORD dst_unused:UNUSED_PAD src0_sel:DWORD src1_sel:WORD_1
	s_waitcnt vmcnt(0)
	v_mul_f16_sdwa v61, v28, v21 dst_sel:DWORD dst_unused:UNUSED_PAD src0_sel:DWORD src1_sel:WORD_1
	v_mul_f16_sdwa v63, v17, v22 dst_sel:DWORD dst_unused:UNUSED_PAD src0_sel:DWORD src1_sel:WORD_1
	v_mul_f16_sdwa v52, v44, v4 dst_sel:DWORD dst_unused:UNUSED_PAD src0_sel:DWORD src1_sel:WORD_1
	v_mul_f16_sdwa v54, v45, v5 dst_sel:DWORD dst_unused:UNUSED_PAD src0_sel:DWORD src1_sel:WORD_1
	v_mul_f16_sdwa v57, v26, v6 dst_sel:DWORD dst_unused:UNUSED_PAD src0_sel:DWORD src1_sel:WORD_1
	v_mul_f16_sdwa v59, v27, v7 dst_sel:DWORD dst_unused:UNUSED_PAD src0_sel:DWORD src1_sel:WORD_1
	v_mul_f16_sdwa v60, v48, v21 dst_sel:DWORD dst_unused:UNUSED_PAD src0_sel:DWORD src1_sel:WORD_1
	v_mul_f16_sdwa v62, v49, v22 dst_sel:DWORD dst_unused:UNUSED_PAD src0_sel:DWORD src1_sel:WORD_1
	v_fmac_f16_e32 v53, v44, v4
	v_fmac_f16_e32 v55, v45, v5
	;; [unrolled: 1-line block ×4, first 2 shown]
	v_mul_f16_sdwa v56, v46, v6 dst_sel:DWORD dst_unused:UNUSED_PAD src0_sel:DWORD src1_sel:WORD_1
	v_mul_f16_sdwa v58, v47, v7 dst_sel:DWORD dst_unused:UNUSED_PAD src0_sel:DWORD src1_sel:WORD_1
	v_fma_f16 v24, v24, v4, -v52
	v_fma_f16 v25, v25, v5, -v54
	v_fmac_f16_e32 v57, v46, v6
	v_fma_f16 v17, v17, v22, -v62
	v_fmac_f16_e32 v59, v47, v7
	v_fma_f16 v28, v28, v21, -v60
	v_add_f16_e32 v45, v53, v63
	v_add_f16_e32 v47, v55, v61
	v_fma_f16 v26, v26, v6, -v56
	v_fma_f16 v27, v27, v7, -v58
	v_add_f16_e32 v44, v24, v17
	v_sub_f16_e32 v17, v24, v17
	v_sub_f16_e32 v24, v53, v63
	v_add_f16_e32 v46, v25, v28
	v_add_f16_e32 v49, v57, v59
	;; [unrolled: 1-line block ×3, first 2 shown]
	v_sub_f16_e32 v25, v25, v28
	v_sub_f16_e32 v28, v55, v61
	v_add_f16_e32 v48, v26, v27
	v_sub_f16_e32 v26, v27, v26
	v_sub_f16_e32 v27, v59, v57
	v_add_f16_e32 v52, v46, v44
	v_sub_f16_e32 v55, v47, v45
	v_sub_f16_e32 v45, v45, v49
	;; [unrolled: 1-line block ×3, first 2 shown]
	v_add_f16_e32 v49, v49, v53
	v_sub_f16_e32 v54, v46, v44
	v_sub_f16_e32 v44, v44, v48
	;; [unrolled: 1-line block ×3, first 2 shown]
	v_add_f16_e32 v56, v26, v25
	v_add_f16_e32 v57, v27, v28
	v_sub_f16_e32 v58, v26, v25
	v_sub_f16_e32 v59, v27, v28
	;; [unrolled: 1-line block ×4, first 2 shown]
	v_add_f16_e32 v48, v48, v52
	v_add_f16_sdwa v61, v49, v23 dst_sel:DWORD dst_unused:UNUSED_PAD src0_sel:DWORD src1_sel:WORD_1
	v_sub_f16_e32 v26, v17, v26
	v_sub_f16_e32 v27, v24, v27
	v_add_f16_e32 v17, v56, v17
	v_add_f16_e32 v24, v57, v24
	v_mul_f16_e32 v44, 0x3a52, v44
	v_mul_f16_e32 v45, 0x3a52, v45
	;; [unrolled: 1-line block ×8, first 2 shown]
	v_add_f16_e32 v60, v48, v23
	v_lshlrev_b32_e32 v23, 16, v61
	v_fmamk_f16 v46, v46, 0x2b26, v44
	v_fmamk_f16 v47, v47, 0x2b26, v45
	v_fma_f16 v52, v54, 0x39e0, -v52
	v_fma_f16 v53, v55, 0x39e0, -v53
	;; [unrolled: 1-line block ×4, first 2 shown]
	v_fmamk_f16 v54, v26, 0x3574, v56
	v_fmamk_f16 v55, v27, 0x3574, v57
	v_fma_f16 v25, v25, 0x3b00, -v56
	v_fma_f16 v56, v28, 0x3b00, -v57
	;; [unrolled: 1-line block ×4, first 2 shown]
	v_fmac_f16_e32 v61, 0xbcab, v49
	v_or_b32_sdwa v23, v23, v60 dst_sel:DWORD dst_unused:UNUSED_PAD src0_sel:DWORD src1_sel:WORD_0
	v_fmac_f16_e32 v60, 0xbcab, v48
	v_fmac_f16_e32 v54, 0x370e, v17
	;; [unrolled: 1-line block ×7, first 2 shown]
	v_add_f16_e32 v17, v47, v61
	v_add_f16_e32 v24, v53, v61
	;; [unrolled: 1-line block ×6, first 2 shown]
	v_sub_f16_e32 v49, v17, v54
	v_add_f16_e32 v47, v25, v24
	v_sub_f16_e32 v46, v24, v25
	v_add_f16_e32 v24, v55, v53
	;; [unrolled: 2-line block ×3, first 2 shown]
	v_add_f16_e32 v27, v57, v58
	v_sub_f16_e32 v28, v52, v56
	v_add_f16_e32 v25, v56, v52
	v_sub_f16_e32 v26, v58, v57
	;; [unrolled: 2-line block ×3, first 2 shown]
	v_pack_b32_f16 v52, v24, v49
	v_pack_b32_f16 v53, v27, v48
	;; [unrolled: 1-line block ×6, first 2 shown]
	ds_write2_b32 v29, v23, v52 offset1:119
	ds_write2_b32 v51, v53, v54 offset0:110 offset1:229
	ds_write2_b32 v50, v55, v56 offset0:92 offset1:211
	ds_write_b32 v29, v57 offset:2856
	s_waitcnt lgkmcnt(0)
	s_barrier
	buffer_gl0_inv
	s_and_saveexec_b32 s1, vcc_lo
	s_cbranch_execz .LBB0_9
; %bb.8:
	v_add_co_u32 v55, s0, s8, v29
	v_add_co_ci_u32_e64 v56, null, s9, 0, s0
	v_add_nc_u32_e32 v80, 0x400, v29
	v_add_co_u32 v51, s0, 0x800, v55
	v_add_co_ci_u32_e64 v52, s0, 0, v56, s0
	v_add_co_u32 v53, s0, 0xd04, v55
	v_add_co_ci_u32_e64 v54, s0, 0, v56, s0
	v_add_nc_u32_e32 v81, 0x800, v29
	s_clause 0x1
	global_load_dword v57, v[51:52], off offset:1284
	global_load_dword v58, v[53:54], off offset:196
	v_add_co_u32 v51, s0, 0x1000, v55
	s_clause 0x2
	global_load_dword v65, v[53:54], off offset:392
	global_load_dword v66, v[53:54], off offset:588
	;; [unrolled: 1-line block ×3, first 2 shown]
	v_add_co_ci_u32_e64 v52, s0, 0, v56, s0
	v_add_co_u32 v55, s0, 0x1800, v55
	v_add_co_ci_u32_e64 v56, s0, 0, v56, s0
	s_clause 0xb
	global_load_dword v68, v[53:54], off offset:980
	global_load_dword v69, v[53:54], off offset:1176
	;; [unrolled: 1-line block ×12, first 2 shown]
	ds_read2_b32 v[51:52], v29 offset1:49
	s_waitcnt lgkmcnt(0)
	v_lshrrev_b32_e32 v53, 16, v51
	v_lshrrev_b32_e32 v54, 16, v52
	s_waitcnt vmcnt(16)
	v_mul_f16_sdwa v55, v53, v57 dst_sel:DWORD dst_unused:UNUSED_PAD src0_sel:DWORD src1_sel:WORD_1
	v_mul_f16_sdwa v56, v51, v57 dst_sel:DWORD dst_unused:UNUSED_PAD src0_sel:DWORD src1_sel:WORD_1
	s_waitcnt vmcnt(15)
	v_mul_f16_sdwa v59, v54, v58 dst_sel:DWORD dst_unused:UNUSED_PAD src0_sel:DWORD src1_sel:WORD_1
	v_mul_f16_sdwa v60, v52, v58 dst_sel:DWORD dst_unused:UNUSED_PAD src0_sel:DWORD src1_sel:WORD_1
	v_fma_f16 v51, v51, v57, -v55
	v_fmac_f16_e32 v56, v53, v57
	v_fma_f16 v52, v52, v58, -v59
	v_fmac_f16_e32 v60, v54, v58
	v_pack_b32_f16 v51, v51, v56
	v_pack_b32_f16 v52, v52, v60
	ds_write2_b32 v29, v51, v52 offset1:49
	ds_read2_b32 v[51:52], v29 offset0:98 offset1:147
	ds_read2_b32 v[53:54], v29 offset0:196 offset1:245
	;; [unrolled: 1-line block ×7, first 2 shown]
	ds_read_b32 v82, v29 offset:3136
	s_waitcnt lgkmcnt(4)
	v_lshrrev_b32_e32 v95, 16, v57
	s_waitcnt vmcnt(8)
	v_mul_f16_sdwa v96, v57, v71 dst_sel:DWORD dst_unused:UNUSED_PAD src0_sel:DWORD src1_sel:WORD_1
	v_lshrrev_b32_e32 v83, 16, v51
	v_mul_f16_sdwa v84, v51, v65 dst_sel:DWORD dst_unused:UNUSED_PAD src0_sel:DWORD src1_sel:WORD_1
	v_lshrrev_b32_e32 v85, 16, v52
	;; [unrolled: 2-line block ×7, first 2 shown]
	s_waitcnt vmcnt(7)
	v_mul_f16_sdwa v98, v58, v72 dst_sel:DWORD dst_unused:UNUSED_PAD src0_sel:DWORD src1_sel:WORD_1
	s_waitcnt lgkmcnt(3)
	v_lshrrev_b32_e32 v99, 16, v59
	s_waitcnt vmcnt(1)
	v_mul_f16_sdwa v100, v59, v78 dst_sel:DWORD dst_unused:UNUSED_PAD src0_sel:DWORD src1_sel:WORD_1
	v_lshrrev_b32_e32 v101, 16, v60
	v_mul_f16_sdwa v102, v60, v73 dst_sel:DWORD dst_unused:UNUSED_PAD src0_sel:DWORD src1_sel:WORD_1
	s_waitcnt lgkmcnt(2)
	v_lshrrev_b32_e32 v103, 16, v61
	v_mul_f16_sdwa v104, v61, v74 dst_sel:DWORD dst_unused:UNUSED_PAD src0_sel:DWORD src1_sel:WORD_1
	v_lshrrev_b32_e32 v105, 16, v62
	v_mul_f16_sdwa v106, v62, v75 dst_sel:DWORD dst_unused:UNUSED_PAD src0_sel:DWORD src1_sel:WORD_1
	s_waitcnt lgkmcnt(1)
	v_lshrrev_b32_e32 v107, 16, v63
	;; [unrolled: 5-line block ×3, first 2 shown]
	v_mul_f16_sdwa v113, v83, v65 dst_sel:DWORD dst_unused:UNUSED_PAD src0_sel:DWORD src1_sel:WORD_1
	v_fmac_f16_e32 v84, v83, v65
	v_mul_f16_sdwa v83, v85, v66 dst_sel:DWORD dst_unused:UNUSED_PAD src0_sel:DWORD src1_sel:WORD_1
	v_fmac_f16_e32 v86, v85, v66
	;; [unrolled: 2-line block ×9, first 2 shown]
	v_mul_f16_sdwa v99, v101, v73 dst_sel:DWORD dst_unused:UNUSED_PAD src0_sel:DWORD src1_sel:WORD_1
	s_waitcnt vmcnt(0)
	v_mul_f16_sdwa v112, v82, v79 dst_sel:DWORD dst_unused:UNUSED_PAD src0_sel:DWORD src1_sel:WORD_1
	v_fmac_f16_e32 v102, v101, v73
	v_mul_f16_sdwa v101, v103, v74 dst_sel:DWORD dst_unused:UNUSED_PAD src0_sel:DWORD src1_sel:WORD_1
	v_fmac_f16_e32 v104, v103, v74
	;; [unrolled: 2-line block ×5, first 2 shown]
	v_mul_f16_sdwa v109, v111, v79 dst_sel:DWORD dst_unused:UNUSED_PAD src0_sel:DWORD src1_sel:WORD_1
	v_fma_f16 v51, v51, v65, -v113
	v_fma_f16 v52, v52, v66, -v83
	;; [unrolled: 1-line block ×10, first 2 shown]
	v_fmac_f16_e32 v112, v111, v79
	v_fma_f16 v61, v61, v74, -v101
	v_fma_f16 v62, v62, v75, -v103
	;; [unrolled: 1-line block ×5, first 2 shown]
	v_pack_b32_f16 v51, v51, v84
	v_pack_b32_f16 v52, v52, v86
	;; [unrolled: 1-line block ×15, first 2 shown]
	ds_write2_b32 v29, v51, v52 offset0:98 offset1:147
	ds_write2_b32 v29, v53, v54 offset0:196 offset1:245
	;; [unrolled: 1-line block ×7, first 2 shown]
	ds_write_b32 v29, v65 offset:3136
.LBB0_9:
	s_or_b32 exec_lo, exec_lo, s1
	s_waitcnt lgkmcnt(0)
	s_barrier
	buffer_gl0_inv
	s_and_saveexec_b32 s0, vcc_lo
	s_cbranch_execz .LBB0_11
; %bb.10:
	v_add_nc_u32_e32 v9, 0x400, v29
	v_add_nc_u32_e32 v10, 0x600, v29
	;; [unrolled: 1-line block ×3, first 2 shown]
	ds_read2_b32 v[23:24], v29 offset1:49
	ds_read2_b32 v[27:28], v29 offset0:98 offset1:147
	ds_read2_b32 v[25:26], v29 offset0:196 offset1:245
	;; [unrolled: 1-line block ×7, first 2 shown]
	ds_read_b32 v32, v29 offset:3136
	s_waitcnt lgkmcnt(4)
	v_lshrrev_b32_e32 v41, 16, v15
	v_lshrrev_b32_e32 v49, 16, v24
	;; [unrolled: 1-line block ×9, first 2 shown]
	s_waitcnt lgkmcnt(3)
	v_lshrrev_b32_e32 v39, 16, v13
	v_lshrrev_b32_e32 v38, 16, v14
	s_waitcnt lgkmcnt(2)
	v_lshrrev_b32_e32 v37, 16, v11
	v_lshrrev_b32_e32 v36, 16, v12
	;; [unrolled: 3-line block ×3, first 2 shown]
	s_waitcnt lgkmcnt(0)
	v_lshrrev_b32_e32 v33, 16, v32
.LBB0_11:
	s_or_b32 exec_lo, exec_lo, s0
	s_barrier
	buffer_gl0_inv
	s_and_saveexec_b32 s0, vcc_lo
	s_cbranch_execz .LBB0_13
; %bb.12:
	v_add_f16_e32 v147, v33, v49
	v_sub_f16_e32 v55, v24, v32
	v_add_f16_e32 v144, v34, v48
	v_sub_f16_e32 v52, v27, v10
	v_add_f16_e32 v143, v35, v47
	v_mul_f16_e32 v88, 0xbbdd, v147
	v_sub_f16_e32 v53, v28, v9
	v_mul_f16_e32 v82, 0x3b76, v144
	v_add_f16_e32 v132, v36, v46
	v_mul_f16_e32 v83, 0xbacd, v143
	v_fmamk_f16 v54, v55, 0x31e1, v88
	v_sub_f16_e32 v51, v25, v12
	v_fmamk_f16 v56, v52, 0xb5c8, v82
	v_add_f16_e32 v142, v37, v45
	v_mul_f16_e32 v80, 0x39e9, v132
	v_add_f16_sdwa v57, v54, v23 dst_sel:DWORD dst_unused:UNUSED_PAD src0_sel:DWORD src1_sel:WORD_1
	v_fmamk_f16 v58, v53, 0x3836, v83
	v_sub_f16_e32 v50, v26, v11
	v_add_f16_e32 v135, v38, v44
	v_sub_f16_e32 v160, v49, v33
	v_add_f16_e32 v56, v56, v57
	v_mul_f16_e32 v81, 0xb8d2, v142
	v_fmamk_f16 v59, v51, 0xb964, v80
	v_sub_f16_e32 v54, v17, v14
	v_add_f16_e32 v133, v39, v42
	v_add_f16_e32 v56, v58, v56
	;; [unrolled: 1-line block ×3, first 2 shown]
	v_mul_f16_e32 v79, 0x3722, v135
	v_mul_f16_e32 v95, 0xb1e1, v160
	v_fmamk_f16 v60, v50, 0x3a62, v81
	v_add_f16_e32 v56, v59, v56
	v_sub_f16_e32 v162, v48, v34
	v_add_f16_e32 v58, v10, v27
	v_fmamk_f16 v61, v54, 0xbb29, v79
	v_fmamk_f16 v59, v57, 0xbbdd, v95
	v_add_f16_e32 v60, v60, v56
	v_mul_f16_e32 v106, 0x35c8, v162
	v_mul_f16_e32 v78, 0xb461, v133
	v_sub_f16_e32 v165, v47, v35
	v_sub_f16_e32 v56, v18, v13
	v_add_f16_e32 v62, v59, v23
	v_fmamk_f16 v63, v58, 0x3b76, v106
	v_add_f16_e32 v59, v9, v28
	v_mul_f16_e32 v108, 0xb836, v165
	v_add_f16_e32 v61, v61, v60
	v_sub_f16_e32 v171, v46, v36
	v_fmamk_f16 v64, v56, 0x3bb2, v78
	v_mul_f16_e32 v124, 0xbacd, v147
	v_add_f16_e32 v62, v63, v62
	v_fmamk_f16 v63, v59, 0xbacd, v108
	v_add_f16_e32 v60, v12, v25
	v_mul_f16_e32 v93, 0x3964, v171
	v_add_f16_e32 v65, v64, v61
	v_fmamk_f16 v64, v55, 0x3836, v124
	v_mul_f16_e32 v123, 0x3722, v144
	v_add_f16_e32 v154, v40, v41
	v_add_f16_e32 v62, v63, v62
	v_fmamk_f16 v63, v60, 0x39e9, v93
	v_sub_f16_e32 v185, v45, v37
	v_add_f16_sdwa v66, v64, v23 dst_sel:DWORD dst_unused:UNUSED_PAD src0_sel:DWORD src1_sel:WORD_1
	v_fmamk_f16 v67, v52, 0xbb29, v123
	v_mul_f16_e32 v109, 0x2de8, v143
	v_mul_f16_e32 v84, 0x2de8, v154
	v_sub_f16_e32 v61, v15, v16
	v_add_f16_e32 v62, v63, v62
	v_add_f16_e32 v63, v11, v26
	v_mul_f16_e32 v117, 0xba62, v185
	v_sub_f16_e32 v146, v44, v38
	v_add_f16_e32 v66, v67, v66
	v_fmamk_f16 v67, v53, 0x3bf7, v109
	v_mul_f16_e32 v96, 0xb8d2, v132
	v_fmamk_f16 v68, v63, 0xb8d2, v117
	v_add_f16_e32 v64, v14, v17
	v_mul_f16_e32 v107, 0x3b29, v146
	v_fmamk_f16 v69, v61, 0xbbf7, v84
	v_add_f16_e32 v66, v67, v66
	v_fmamk_f16 v67, v51, 0xba62, v96
	v_mul_f16_e32 v89, 0x3b76, v142
	v_sub_f16_e32 v140, v42, v39
	v_add_f16_e32 v68, v68, v62
	v_fmamk_f16 v70, v64, 0x3722, v107
	v_add_f16_e32 v62, v69, v65
	v_add_f16_e32 v66, v67, v66
	v_fmamk_f16 v67, v50, 0x35c8, v89
	v_mul_f16_e32 v87, 0xbbdd, v135
	v_add_f16_e32 v65, v13, v18
	v_mul_f16_e32 v118, 0xbbb2, v140
	v_sub_f16_e32 v126, v41, v40
	v_add_f16_e32 v68, v70, v68
	v_add_f16_e32 v67, v67, v66
	v_fmamk_f16 v69, v54, 0x31e1, v87
	v_mul_f16_e32 v86, 0x39e9, v133
	v_fmamk_f16 v70, v65, 0xb461, v118
	v_add_f16_e32 v66, v16, v15
	v_mul_f16_e32 v98, 0x3bf7, v126
	v_add_f16_e32 v67, v69, v67
	v_fmamk_f16 v69, v56, 0xb964, v86
	v_mul_f16_e32 v76, 0xb461, v154
	v_add_f16_e32 v68, v70, v68
	v_fmamk_f16 v70, v66, 0x2de8, v98
	v_mul_f16_e32 v122, 0xb836, v160
	v_add_f16_e32 v69, v69, v67
	v_fmamk_f16 v71, v61, 0x3bb2, v76
	v_mul_f16_e32 v120, 0xb8d2, v147
	v_add_f16_e32 v67, v70, v68
	v_fmamk_f16 v70, v57, 0xbacd, v122
	v_mul_f16_e32 v136, 0x3b29, v162
	v_add_f16_e32 v68, v71, v69
	v_fmamk_f16 v69, v55, 0x3a62, v120
	v_mul_f16_e32 v121, 0xb461, v144
	v_add_f16_e32 v70, v70, v23
	v_fmamk_f16 v71, v58, 0x3722, v136
	v_mul_f16_e32 v127, 0xbbf7, v165
	v_add_f16_sdwa v69, v69, v23 dst_sel:DWORD dst_unused:UNUSED_PAD src0_sel:DWORD src1_sel:WORD_1
	v_fmamk_f16 v72, v52, 0xbbb2, v121
	v_mul_f16_e32 v97, 0x3b76, v143
	v_add_f16_e32 v70, v71, v70
	v_fmamk_f16 v71, v59, 0x2de8, v127
	v_mul_f16_e32 v128, 0x3a62, v171
	v_add_f16_e32 v69, v72, v69
	v_fmamk_f16 v72, v53, 0x35c8, v97
	v_mul_f16_e32 v99, 0xbacd, v132
	v_add_f16_e32 v70, v71, v70
	v_fmamk_f16 v71, v60, 0xb8d2, v128
	v_mul_f16_e32 v111, 0xb5c8, v185
	v_add_f16_e32 v69, v72, v69
	v_fmamk_f16 v72, v51, 0x3836, v99
	v_mul_f16_e32 v104, 0x2de8, v142
	v_add_f16_e32 v70, v71, v70
	v_fmamk_f16 v71, v63, 0x3b76, v111
	v_mul_f16_e32 v114, 0xb1e1, v146
	v_add_f16_e32 v69, v72, v69
	v_fmamk_f16 v72, v50, 0xbbf7, v104
	v_mul_f16_e32 v105, 0x39e9, v135
	v_add_f16_e32 v70, v71, v70
	v_fmamk_f16 v71, v64, 0xbbdd, v114
	v_mul_f16_e32 v116, 0x3964, v140
	v_add_f16_e32 v69, v72, v69
	v_fmamk_f16 v72, v54, 0x3964, v105
	v_mul_f16_e32 v94, 0xbbdd, v133
	v_add_f16_e32 v70, v71, v70
	v_fmamk_f16 v71, v65, 0x39e9, v116
	v_mul_f16_e32 v119, 0xbbb2, v126
	v_add_f16_e32 v69, v72, v69
	v_fmamk_f16 v72, v56, 0x31e1, v94
	v_mul_f16_e32 v85, 0x3722, v154
	v_add_f16_e32 v70, v71, v70
	v_fmamk_f16 v71, v66, 0xb461, v119
	v_mul_f16_e32 v138, 0xba62, v160
	v_add_f16_e32 v72, v72, v69
	v_fmamk_f16 v73, v61, 0xbb29, v85
	v_mul_f16_e32 v129, 0xb461, v147
	v_add_f16_e32 v69, v71, v70
	v_fmamk_f16 v71, v57, 0xb8d2, v138
	v_mul_f16_e32 v163, 0x3bb2, v162
	v_add_f16_e32 v70, v73, v72
	v_fmamk_f16 v72, v55, 0x3bb2, v129
	v_mul_f16_e32 v112, 0xbacd, v144
	v_add_f16_e32 v71, v71, v23
	v_fmamk_f16 v73, v58, 0xb461, v163
	v_mul_f16_e32 v164, 0xb5c8, v165
	v_add_f16_sdwa v72, v72, v23 dst_sel:DWORD dst_unused:UNUSED_PAD src0_sel:DWORD src1_sel:WORD_1
	v_fmamk_f16 v74, v52, 0xb836, v112
	v_mul_f16_e32 v115, 0x39e9, v143
	v_add_f16_e32 v71, v73, v71
	v_fmamk_f16 v73, v59, 0x3b76, v164
	v_mul_f16_e32 v166, 0xb836, v171
	v_add_f16_e32 v72, v74, v72
	v_fmamk_f16 v74, v53, 0xb964, v115
	v_mul_f16_e32 v100, 0x3722, v132
	v_add_f16_e32 v71, v73, v71
	v_fmamk_f16 v73, v60, 0xbacd, v166
	v_mul_f16_e32 v167, 0x3bf7, v185
	v_add_f16_e32 v72, v74, v72
	v_fmamk_f16 v74, v51, 0x3b29, v100
	v_mul_f16_e32 v101, 0xbbdd, v142
	v_add_f16_e32 v71, v73, v71
	v_fmamk_f16 v73, v63, 0x2de8, v167
	v_mul_f16_e32 v161, 0xb964, v146
	v_add_f16_e32 v72, v74, v72
	v_fmamk_f16 v74, v50, 0x31e1, v101
	v_mul_f16_e32 v102, 0x2de8, v135
	v_add_f16_e32 v71, v73, v71
	v_fmamk_f16 v73, v64, 0x39e9, v161
	v_mul_f16_e32 v139, 0xb1e1, v140
	v_add_f16_e32 v72, v74, v72
	v_fmamk_f16 v74, v54, 0xbbf7, v102
	v_mul_f16_e32 v103, 0x3b76, v133
	v_add_f16_e32 v71, v73, v71
	v_fmamk_f16 v73, v65, 0xbbdd, v139
	;; [unrolled: 48-line block ×4, first 2 shown]
	v_mul_f16_e32 v173, 0x3964, v126
	v_add_f16_e32 v77, v110, v77
	v_fmamk_f16 v110, v56, 0x3bf7, v145
	v_mul_f16_e32 v196, 0xbb29, v160
	v_add_f16_e32 v75, v91, v75
	v_fmamk_f16 v91, v66, 0x39e9, v173
	;; [unrolled: 3-line block ×5, first 2 shown]
	v_mul_f16_e32 v200, 0x31e1, v165
	v_add_f16_sdwa v91, v91, v23 dst_sel:DWORD dst_unused:UNUSED_PAD src0_sel:DWORD src1_sel:WORD_1
	v_fmamk_f16 v153, v52, 0x3bf7, v174
	v_mul_f16_e32 v175, 0xb8d2, v143
	v_add_f16_e32 v110, v113, v110
	v_fmamk_f16 v113, v59, 0xbbdd, v200
	v_mul_f16_e32 v201, 0x3bb2, v171
	v_add_f16_e32 v91, v153, v91
	;; [unrolled: 3-line block ×4, first 2 shown]
	v_fmamk_f16 v153, v51, 0x31e1, v182
	v_mul_f16_e32 v125, 0xbacd, v154
	v_mul_f16_e32 v202, 0x3964, v185
	v_add_f16_e32 v170, v170, v113
	v_mul_f16_e32 v113, 0xb461, v135
	v_add_f16_e32 v91, v153, v91
	v_fmamk_f16 v153, v50, 0xb836, v110
	v_fmamk_f16 v137, v61, 0x3836, v125
	;; [unrolled: 1-line block ×3, first 2 shown]
	v_mul_f16_e32 v198, 0xb5c8, v146
	v_mul_f16_e32 v204, 0xb964, v160
	v_add_f16_e32 v91, v153, v91
	v_fmamk_f16 v153, v54, 0xbbb2, v113
	v_add_f16_e32 v170, v184, v170
	v_fmamk_f16 v184, v64, 0x3b76, v198
	v_add_f16_e32 v77, v137, v77
	v_mul_f16_e32 v203, 0xbbf7, v140
	v_mul_f16_e32 v137, 0x3722, v133
	v_add_f16_e32 v91, v153, v91
	v_fmamk_f16 v153, v57, 0x39e9, v204
	v_mul_f16_e32 v205, 0xbbf7, v162
	v_add_f16_e32 v170, v184, v170
	v_fmamk_f16 v184, v65, 0x2de8, v203
	v_fmamk_f16 v191, v56, 0xbb29, v137
	v_mul_f16_e32 v206, 0xb836, v126
	v_add_f16_e32 v153, v153, v23
	v_fmamk_f16 v192, v58, 0x2de8, v205
	v_mul_f16_e32 v207, 0xba62, v165
	v_add_f16_e32 v170, v184, v170
	v_fmamk_f16 v193, v66, 0xbacd, v206
	v_add_f16_e32 v195, v191, v91
	v_add_f16_e32 v191, v192, v153
	v_fmamk_f16 v192, v59, 0xb8d2, v207
	v_mul_f16_e32 v184, 0xb1e1, v171
	v_add_f16_e32 v91, v193, v170
	v_mul_f16_e32 v147, 0x3b76, v147
	v_mul_f16_e32 v153, 0x3b76, v154
	v_add_f16_e32 v170, v192, v191
	v_fmamk_f16 v192, v60, 0xbbdd, v184
	v_mul_f16_e32 v191, 0x3836, v185
	v_fmamk_f16 v208, v55, 0x35c8, v147
	v_mul_f16_e32 v144, 0x39e9, v144
	v_mul_f16_e32 v193, 0x3bb2, v146
	v_add_f16_e32 v170, v192, v170
	v_fmamk_f16 v192, v63, 0xbacd, v191
	v_fmamk_f16 v197, v61, 0xb5c8, v153
	v_add_f16_sdwa v208, v208, v23 dst_sel:DWORD dst_unused:UNUSED_PAD src0_sel:DWORD src1_sel:WORD_1
	v_fmamk_f16 v209, v52, 0x3964, v144
	v_mul_f16_e32 v143, 0x3722, v143
	v_add_f16_e32 v210, v192, v170
	v_fmamk_f16 v211, v64, 0xb461, v193
	v_mul_f16_e32 v192, 0x3b29, v140
	v_add_f16_e32 v208, v209, v208
	;; [unrolled: 3-line block ×3, first 2 shown]
	v_fmamk_f16 v211, v65, 0x3722, v192
	v_add_f16_e32 v132, v197, v195
	v_mul_f16_e32 v197, 0xb5c8, v160
	v_add_f16_e32 v208, v209, v208
	v_fmamk_f16 v209, v51, 0x3bf7, v170
	v_mul_f16_e32 v142, 0xb461, v142
	v_add_f16_e32 v210, v211, v210
	v_mul_f16_e32 v195, 0x35c8, v126
	v_fmamk_f16 v211, v57, 0x3b76, v197
	v_mul_f16_e32 v162, 0xb964, v162
	v_fmac_f16_e32 v88, 0xb1e1, v55
	v_add_f16_e32 v160, v209, v208
	v_fmamk_f16 v208, v50, 0x3bb2, v142
	v_mul_f16_e32 v135, 0xb8d2, v135
	v_fmamk_f16 v209, v66, 0x3b76, v195
	v_add_f16_e32 v211, v211, v23
	v_fmamk_f16 v213, v58, 0x39e9, v162
	v_mul_f16_e32 v165, 0xbb29, v165
	v_add_f16_sdwa v88, v88, v23 dst_sel:DWORD dst_unused:UNUSED_PAD src0_sel:DWORD src1_sel:WORD_1
	v_fmac_f16_e32 v82, 0x35c8, v52
	v_fma_f16 v95, v57, 0xbbdd, -v95
	v_add_f16_e32 v208, v208, v160
	v_fmamk_f16 v212, v54, 0x3a62, v135
	v_mul_f16_e32 v160, 0xbacd, v133
	v_add_f16_e32 v133, v209, v210
	v_add_f16_e32 v209, v213, v211
	v_fmamk_f16 v210, v59, 0x3722, v165
	v_mul_f16_e32 v171, 0xbbf7, v171
	v_add_f16_e32 v88, v82, v88
	v_fmac_f16_e32 v83, 0xb836, v53
	v_add_f16_e32 v95, v95, v23
	v_fma_f16 v106, v58, 0x3b76, -v106
	v_add_f16_e32 v208, v212, v208
	v_fmamk_f16 v212, v56, 0x3836, v160
	v_mul_f16_e32 v154, 0xbbdd, v154
	v_add_f16_e32 v209, v210, v209
	v_fmamk_f16 v210, v60, 0x2de8, v171
	v_mul_f16_e32 v185, 0xbbb2, v185
	v_add_f16_e32 v88, v83, v88
	v_fmac_f16_e32 v80, 0x3964, v51
	v_add_f16_e32 v95, v106, v95
	v_fma_f16 v106, v59, 0xbacd, -v108
	v_fmac_f16_e32 v124, 0xb836, v55
	v_add_f16_e32 v208, v212, v208
	v_fmamk_f16 v211, v61, 0x31e1, v154
	v_add_f16_e32 v209, v210, v209
	v_fmamk_f16 v210, v63, 0xb461, v185
	v_mul_f16_e32 v83, 0xba62, v146
	v_add_f16_e32 v80, v80, v88
	v_fmac_f16_e32 v81, 0xba62, v50
	v_add_f16_e32 v88, v106, v95
	v_fma_f16 v93, v60, 0x39e9, -v93
	v_add_f16_sdwa v95, v124, v23 dst_sel:DWORD dst_unused:UNUSED_PAD src0_sel:DWORD src1_sel:WORD_1
	v_fmac_f16_e32 v123, 0x3b29, v52
	v_add_f16_e32 v82, v211, v208
	v_add_f16_e32 v208, v210, v209
	v_fmamk_f16 v106, v64, 0xb8d2, v83
	v_mul_f16_e32 v108, 0xb836, v140
	v_add_f16_e32 v80, v81, v80
	v_add_f16_e32 v81, v93, v88
	;; [unrolled: 1-line block ×3, first 2 shown]
	v_fmac_f16_e32 v79, 0x3b29, v54
	v_fma_f16 v93, v63, 0xb8d2, -v117
	v_fmac_f16_e32 v109, 0xbbf7, v53
	v_add_f16_e32 v95, v106, v208
	v_fmamk_f16 v106, v65, 0xbacd, v108
	v_add_f16_e32 v79, v79, v80
	v_add_f16_e32 v80, v93, v81
	;; [unrolled: 1-line block ×3, first 2 shown]
	v_fmac_f16_e32 v78, 0xbbb2, v56
	v_fma_f16 v88, v64, 0x3722, -v107
	v_mul_f16_e32 v93, 0xb1e1, v126
	v_fmac_f16_e32 v96, 0x3a62, v51
	v_add_f16_e32 v95, v106, v95
	v_add_f16_e32 v78, v78, v79
	;; [unrolled: 1-line block ×3, first 2 shown]
	v_fmamk_f16 v80, v66, 0xbbdd, v93
	v_add_f16_e32 v81, v96, v81
	v_fmac_f16_e32 v84, 0x3bf7, v61
	v_fma_f16 v88, v65, 0xb461, -v118
	v_fmac_f16_e32 v89, 0xb5c8, v50
	v_add_f16_e32 v80, v80, v95
	v_fma_f16 v95, v57, 0xbacd, -v122
	v_add_f16_e32 v78, v84, v78
	v_add_f16_e32 v79, v88, v79
	;; [unrolled: 1-line block ×3, first 2 shown]
	v_fmac_f16_e32 v87, 0xb1e1, v54
	v_add_f16_e32 v84, v95, v23
	v_fma_f16 v88, v58, 0x3722, -v136
	v_fmac_f16_e32 v120, 0xba62, v55
	v_fmac_f16_e32 v86, 0x3964, v56
	v_add_f16_e32 v81, v87, v81
	v_fma_f16 v87, v59, 0x2de8, -v127
	v_add_f16_e32 v84, v88, v84
	v_add_f16_sdwa v88, v120, v23 dst_sel:DWORD dst_unused:UNUSED_PAD src0_sel:DWORD src1_sel:WORD_1
	v_fmac_f16_e32 v121, 0x3bb2, v52
	v_fma_f16 v89, v66, 0x2de8, -v98
	v_add_f16_e32 v81, v86, v81
	v_add_f16_e32 v84, v87, v84
	v_fma_f16 v86, v60, 0xb8d2, -v128
	v_add_f16_e32 v87, v121, v88
	v_fmac_f16_e32 v97, 0xb5c8, v53
	v_fma_f16 v88, v57, 0xb8d2, -v138
	v_add_f16_e32 v79, v89, v79
	v_add_f16_e32 v84, v86, v84
	v_fma_f16 v86, v63, 0x3b76, -v111
	v_add_f16_e32 v87, v97, v87
	v_fmac_f16_e32 v99, 0xb836, v51
	v_add_f16_e32 v88, v88, v23
	v_fma_f16 v89, v58, 0xb461, -v163
	v_add_f16_e32 v84, v86, v84
	v_fma_f16 v86, v64, 0xbbdd, -v114
	v_add_f16_e32 v87, v99, v87
	v_fmac_f16_e32 v104, 0x3bf7, v50
	v_add_f16_e32 v88, v89, v88
	v_fma_f16 v89, v59, 0x3b76, -v164
	;; [unrolled: 6-line block ×3, first 2 shown]
	v_fmac_f16_e32 v76, 0xbbb2, v61
	v_add_f16_e32 v84, v86, v84
	v_fma_f16 v86, v66, 0xb461, -v119
	v_add_f16_e32 v87, v105, v87
	v_fmac_f16_e32 v94, 0xb1e1, v56
	v_add_f16_e32 v88, v89, v88
	v_fma_f16 v89, v63, 0x2de8, -v167
	v_fmac_f16_e32 v129, 0xbbb2, v55
	v_add_f16_e32 v76, v76, v81
	v_add_f16_e32 v81, v86, v84
	;; [unrolled: 1-line block ×4, first 2 shown]
	v_fma_f16 v87, v64, 0x39e9, -v161
	v_add_f16_sdwa v88, v129, v23 dst_sel:DWORD dst_unused:UNUSED_PAD src0_sel:DWORD src1_sel:WORD_1
	v_fmac_f16_e32 v112, 0x3836, v52
	v_fmac_f16_e32 v85, 0x3b29, v61
	v_fma_f16 v89, v57, 0xb461, -v158
	v_add_f16_e32 v86, v87, v86
	v_fma_f16 v87, v65, 0xbbdd, -v139
	v_add_f16_e32 v88, v112, v88
	v_fmac_f16_e32 v115, 0x3964, v53
	v_add_f16_e32 v89, v89, v23
	v_fma_f16 v94, v58, 0xbacd, -v186
	v_add_f16_e32 v84, v85, v84
	v_add_f16_e32 v85, v87, v86
	;; [unrolled: 1-line block ×3, first 2 shown]
	v_fmac_f16_e32 v100, 0xbb29, v51
	v_add_f16_e32 v87, v94, v89
	v_fma_f16 v88, v59, 0x39e9, -v187
	v_fmac_f16_e32 v148, 0xbbf7, v55
	v_fmac_f16_e32 v101, 0xb1e1, v50
	v_add_f16_e32 v86, v100, v86
	v_fmac_f16_e32 v149, 0xb1e1, v52
	v_add_f16_e32 v87, v88, v87
	v_fma_f16 v88, v60, 0x3722, -v176
	v_add_f16_sdwa v94, v148, v23 dst_sel:DWORD dst_unused:UNUSED_PAD src0_sel:DWORD src1_sel:WORD_1
	v_add_f16_e32 v86, v101, v86
	v_fmac_f16_e32 v102, 0x3bf7, v54
	v_fma_f16 v89, v66, 0x3722, -v134
	v_add_f16_e32 v87, v88, v87
	v_fma_f16 v88, v63, 0xbbdd, -v177
	v_add_f16_e32 v94, v149, v94
	v_fmac_f16_e32 v150, 0x3bb2, v53
	v_add_f16_e32 v86, v102, v86
	v_fmac_f16_e32 v103, 0xb5c8, v56
	v_add_f16_e32 v87, v88, v87
	v_fma_f16 v88, v64, 0x2de8, -v178
	v_add_f16_e32 v94, v150, v94
	v_fmac_f16_e32 v151, 0x35c8, v51
	v_add_f16_e32 v86, v103, v86
	v_fmac_f16_e32 v90, 0xba62, v61
	v_add_f16_e32 v85, v89, v85
	v_fma_f16 v89, v57, 0x2de8, -v183
	v_add_f16_e32 v87, v88, v87
	v_fma_f16 v88, v65, 0x3b76, -v179
	v_add_f16_e32 v94, v151, v94
	v_fmac_f16_e32 v141, 0xbb29, v50
	v_add_f16_e32 v86, v90, v86
	v_add_f16_e32 v89, v89, v23
	v_fma_f16 v90, v58, 0xbbdd, -v194
	v_fmac_f16_e32 v180, 0xbb29, v55
	v_add_f16_e32 v87, v88, v87
	v_add_f16_e32 v88, v141, v94
	v_fma_f16 v94, v66, 0xb8d2, -v155
	v_add_f16_e32 v89, v90, v89
	v_fma_f16 v90, v59, 0xb461, -v188
	v_add_f16_sdwa v95, v180, v23 dst_sel:DWORD dst_unused:UNUSED_PAD src0_sel:DWORD src1_sel:WORD_1
	v_fmac_f16_e32 v181, 0xba62, v52
	v_add_f16_e32 v87, v94, v87
	v_fmac_f16_e32 v152, 0x31e1, v53
	v_add_f16_e32 v89, v90, v89
	v_fma_f16 v90, v60, 0x3b76, -v189
	v_add_f16_e32 v94, v181, v95
	v_fma_f16 v95, v57, 0x3722, -v196
	v_fmac_f16_e32 v156, 0x3bb2, v51
	v_fma_f16 v96, v58, 0xb8d2, -v199
	v_add_f16_e32 v89, v90, v89
	v_fma_f16 v90, v63, 0x3722, -v168
	v_add_f16_e32 v94, v152, v94
	v_add_f16_e32 v95, v95, v23
	v_fmac_f16_e32 v131, 0xb836, v54
	v_fmac_f16_e32 v157, 0x3964, v50
	v_add_f16_e32 v89, v90, v89
	v_fma_f16 v90, v64, 0xbacd, -v169
	v_add_f16_e32 v94, v156, v94
	v_add_f16_e32 v95, v96, v95
	v_fma_f16 v96, v59, 0xbbdd, -v200
	v_add_f16_e32 v88, v131, v88
	v_fmac_f16_e32 v130, 0x3a62, v56
	v_add_f16_e32 v89, v90, v89
	v_fma_f16 v90, v65, 0xb8d2, -v172
	v_add_f16_e32 v94, v157, v94
	v_fmac_f16_e32 v159, 0xb5c8, v54
	;; [unrolled: 4-line block ×4, first 2 shown]
	v_add_f16_e32 v95, v96, v95
	v_fma_f16 v96, v63, 0x39e9, -v202
	v_fmac_f16_e32 v190, 0xb964, v55
	v_add_f16_e32 v88, v92, v88
	v_add_f16_e32 v89, v90, v89
	;; [unrolled: 1-line block ×4, first 2 shown]
	v_fma_f16 v94, v64, 0x3b76, -v198
	v_add_f16_sdwa v95, v190, v23 dst_sel:DWORD dst_unused:UNUSED_PAD src0_sel:DWORD src1_sel:WORD_1
	v_fmac_f16_e32 v174, 0xbbf7, v52
	v_fma_f16 v96, v57, 0x39e9, -v204
	v_fmac_f16_e32 v175, 0xba62, v53
	v_add_f16_e32 v92, v94, v92
	v_fma_f16 v94, v65, 0x2de8, -v203
	v_add_f16_e32 v95, v174, v95
	v_add_f16_e32 v96, v96, v23
	v_fma_f16 v97, v58, 0x2de8, -v205
	v_fmac_f16_e32 v182, 0xb1e1, v51
	v_add_f16_e32 v92, v94, v92
	v_fma_f16 v94, v66, 0xbacd, -v206
	v_add_f16_e32 v95, v175, v95
	v_add_f16_e32 v96, v97, v96
	v_fma_f16 v97, v59, 0xb8d2, -v207
	v_add_f16_sdwa v49, v49, v23 dst_sel:DWORD dst_unused:UNUSED_PAD src0_sel:DWORD src1_sel:WORD_1
	v_add_f16_e32 v24, v24, v23
	v_add_f16_e32 v92, v94, v92
	;; [unrolled: 1-line block ×4, first 2 shown]
	v_fma_f16 v96, v60, 0xbbdd, -v184
	v_add_f16_e32 v48, v48, v49
	v_add_f16_e32 v24, v27, v24
	v_fma_f16 v49, v63, 0xbacd, -v191
	v_fmac_f16_e32 v147, 0xb5c8, v55
	v_add_f16_e32 v27, v96, v95
	v_add_f16_e32 v47, v47, v48
	;; [unrolled: 1-line block ×3, first 2 shown]
	v_fma_f16 v28, v64, 0xb461, -v193
	v_fmac_f16_e32 v144, 0xb964, v52
	v_add_f16_e32 v27, v49, v27
	v_add_f16_e32 v46, v46, v47
	;; [unrolled: 1-line block ×3, first 2 shown]
	v_fmac_f16_e32 v143, 0xbb29, v53
	v_fmac_f16_e32 v170, 0xbbf7, v51
	v_add_f16_e32 v27, v28, v27
	v_add_f16_e32 v28, v45, v46
	;; [unrolled: 1-line block ×3, first 2 shown]
	v_fma_f16 v26, v65, 0x3722, -v192
	v_fmac_f16_e32 v110, 0x3836, v50
	v_fmac_f16_e32 v142, 0xbbb2, v50
	v_add_f16_e32 v28, v44, v28
	v_add_f16_e32 v17, v17, v24
	;; [unrolled: 1-line block ×3, first 2 shown]
	v_fma_f16 v26, v66, 0x3b76, -v195
	v_add_f16_sdwa v27, v147, v23 dst_sel:DWORD dst_unused:UNUSED_PAD src0_sel:DWORD src1_sel:WORD_1
	v_add_f16_e32 v28, v42, v28
	v_add_f16_e32 v17, v18, v17
	;; [unrolled: 1-line block ×4, first 2 shown]
	v_fma_f16 v24, v57, 0x3b76, -v197
	v_add_f16_e32 v26, v41, v28
	v_add_f16_e32 v15, v15, v17
	;; [unrolled: 1-line block ×3, first 2 shown]
	v_fmac_f16_e32 v113, 0x3bb2, v54
	v_add_f16_e32 v23, v24, v23
	v_add_f16_e32 v24, v40, v26
	;; [unrolled: 1-line block ×3, first 2 shown]
	v_fma_f16 v16, v58, 0x39e9, -v162
	v_add_f16_e32 v17, v143, v17
	v_fmac_f16_e32 v135, 0xba62, v54
	v_add_f16_e32 v24, v39, v24
	v_add_f16_e32 v13, v13, v15
	;; [unrolled: 1-line block ×3, first 2 shown]
	v_fma_f16 v16, v59, 0x3722, -v165
	v_add_f16_e32 v17, v170, v17
	v_add_f16_e32 v23, v38, v24
	;; [unrolled: 1-line block ×5, first 2 shown]
	v_fma_f16 v15, v60, 0x2de8, -v171
	v_add_f16_e32 v16, v37, v23
	v_add_f16_e32 v11, v11, v13
	;; [unrolled: 1-line block ×3, first 2 shown]
	v_fmac_f16_e32 v137, 0x3b29, v56
	v_add_f16_e32 v14, v15, v14
	v_add_f16_e32 v15, v36, v16
	;; [unrolled: 1-line block ×3, first 2 shown]
	v_fma_f16 v12, v63, 0xb461, -v185
	v_add_f16_e32 v13, v135, v13
	v_fmac_f16_e32 v160, 0xb836, v56
	v_add_f16_e32 v15, v35, v15
	v_add_f16_e32 v9, v9, v11
	;; [unrolled: 1-line block ×3, first 2 shown]
	v_fma_f16 v12, v64, 0xb8d2, -v83
	v_fmac_f16_e32 v125, 0xb836, v61
	v_add_f16_e32 v14, v34, v15
	v_add_f16_e32 v9, v10, v9
	;; [unrolled: 1-line block ×4, first 2 shown]
	v_fma_f16 v11, v65, 0xbacd, -v108
	v_add_f16_sdwa v12, v33, v14 dst_sel:WORD_1 dst_unused:UNUSED_PAD src0_sel:DWORD src1_sel:DWORD
	v_add_f16_e32 v9, v32, v9
	v_mov_b32_e32 v14, 2
	v_fmac_f16_e32 v153, 0x35c8, v61
	v_add_f16_e32 v13, v160, v13
	v_fmac_f16_e32 v154, 0xb1e1, v61
	v_add_f16_e32 v10, v11, v10
	v_fma_f16 v11, v66, 0xbbdd, -v93
	v_or_b32_sdwa v9, v12, v9 dst_sel:DWORD dst_unused:UNUSED_PAD src0_sel:DWORD src1_sel:WORD_0
	v_lshlrev_b32_sdwa v12, v14, v31 dst_sel:DWORD dst_unused:UNUSED_PAD src0_sel:DWORD src1_sel:WORD_0
	v_pack_b32_f16 v14, v133, v132
	v_pack_b32_f16 v15, v80, v82
	;; [unrolled: 1-line block ×4, first 2 shown]
	v_add_f16_e32 v90, v125, v90
	v_pack_b32_f16 v23, v71, v70
	v_pack_b32_f16 v24, v73, v72
	v_add_f16_e32 v25, v153, v25
	v_add_f16_e32 v13, v154, v13
	;; [unrolled: 1-line block ×3, first 2 shown]
	ds_write_b32 v12, v9
	ds_write2_b32 v12, v15, v14 offset0:1 offset1:2
	ds_write2_b32 v12, v17, v16 offset0:3 offset1:4
	;; [unrolled: 1-line block ×3, first 2 shown]
	v_pack_b32_f16 v9, v67, v62
	v_pack_b32_f16 v11, v69, v68
	;; [unrolled: 1-line block ×10, first 2 shown]
	ds_write2_b32 v12, v11, v9 offset0:7 offset1:8
	ds_write2_b32 v12, v15, v14 offset0:9 offset1:10
	;; [unrolled: 1-line block ×5, first 2 shown]
.LBB0_13:
	s_or_b32 exec_lo, exec_lo, s0
	s_waitcnt lgkmcnt(0)
	s_barrier
	buffer_gl0_inv
	ds_read2_b32 v[10:11], v29 offset1:119
	v_add_nc_u32_e32 v9, 0x200, v29
	v_add_nc_u32_e32 v16, 0x600, v29
	ds_read_b32 v17, v29 offset:2856
	ds_read2_b32 v[12:13], v9 offset0:110 offset1:229
	ds_read2_b32 v[14:15], v16 offset0:92 offset1:211
	s_waitcnt lgkmcnt(0)
	s_barrier
	buffer_gl0_inv
	v_lshrrev_b32_e32 v18, 16, v11
	v_mul_f16_sdwa v24, v0, v11 dst_sel:DWORD dst_unused:UNUSED_PAD src0_sel:WORD_1 src1_sel:DWORD
	v_lshrrev_b32_e32 v23, 16, v17
	v_lshrrev_b32_e32 v26, 16, v12
	;; [unrolled: 1-line block ×3, first 2 shown]
	v_mul_f16_sdwa v32, v0, v18 dst_sel:DWORD dst_unused:UNUSED_PAD src0_sel:WORD_1 src1_sel:DWORD
	v_fma_f16 v18, v0, v18, -v24
	v_mul_f16_sdwa v24, v1, v12 dst_sel:DWORD dst_unused:UNUSED_PAD src0_sel:WORD_1 src1_sel:DWORD
	v_mul_f16_sdwa v25, v20, v17 dst_sel:DWORD dst_unused:UNUSED_PAD src0_sel:WORD_1 src1_sel:DWORD
	v_lshrrev_b32_e32 v31, 16, v15
	v_mul_f16_sdwa v33, v2, v13 dst_sel:DWORD dst_unused:UNUSED_PAD src0_sel:WORD_1 src1_sel:DWORD
	v_mul_f16_sdwa v35, v19, v15 dst_sel:DWORD dst_unused:UNUSED_PAD src0_sel:WORD_1 src1_sel:DWORD
	v_fmac_f16_e32 v32, v0, v11
	v_fma_f16 v11, v1, v26, -v24
	v_mul_f16_sdwa v24, v2, v27 dst_sel:DWORD dst_unused:UNUSED_PAD src0_sel:WORD_1 src1_sel:DWORD
	v_lshrrev_b32_e32 v28, 16, v14
	v_mul_f16_sdwa v34, v3, v14 dst_sel:DWORD dst_unused:UNUSED_PAD src0_sel:WORD_1 src1_sel:DWORD
	v_mul_f16_sdwa v36, v20, v23 dst_sel:DWORD dst_unused:UNUSED_PAD src0_sel:WORD_1 src1_sel:DWORD
	v_fma_f16 v23, v20, v23, -v25
	v_mul_f16_sdwa v0, v1, v26 dst_sel:DWORD dst_unused:UNUSED_PAD src0_sel:WORD_1 src1_sel:DWORD
	v_fma_f16 v25, v2, v27, -v33
	v_mul_f16_sdwa v27, v19, v31 dst_sel:DWORD dst_unused:UNUSED_PAD src0_sel:WORD_1 src1_sel:DWORD
	v_fmac_f16_e32 v24, v2, v13
	v_fma_f16 v2, v19, v31, -v35
	v_mul_f16_sdwa v26, v3, v28 dst_sel:DWORD dst_unused:UNUSED_PAD src0_sel:WORD_1 src1_sel:DWORD
	v_fmac_f16_e32 v36, v20, v17
	v_fmac_f16_e32 v0, v1, v12
	v_fma_f16 v1, v3, v28, -v34
	v_fmac_f16_e32 v27, v19, v15
	v_add_f16_e32 v12, v18, v23
	v_add_f16_e32 v17, v11, v2
	v_fmac_f16_e32 v26, v3, v14
	v_add_f16_e32 v3, v32, v36
	v_sub_f16_e32 v14, v18, v23
	v_add_f16_e32 v15, v0, v27
	v_add_f16_e32 v18, v25, v1
	;; [unrolled: 1-line block ×3, first 2 shown]
	v_sub_f16_e32 v2, v11, v2
	v_add_f16_e32 v11, v24, v26
	v_sub_f16_e32 v1, v1, v25
	v_add_f16_e32 v20, v15, v3
	v_sub_f16_e32 v25, v17, v12
	v_sub_f16_e32 v12, v12, v18
	;; [unrolled: 1-line block ×3, first 2 shown]
	v_add_f16_e32 v18, v18, v23
	v_sub_f16_e32 v0, v0, v27
	v_sub_f16_e32 v19, v26, v24
	v_sub_f16_e32 v24, v15, v3
	v_sub_f16_e32 v3, v3, v11
	v_sub_f16_e32 v15, v11, v15
	v_add_f16_e32 v11, v11, v20
	v_add_f16_sdwa v20, v18, v10 dst_sel:DWORD dst_unused:UNUSED_PAD src0_sel:DWORD src1_sel:WORD_1
	v_sub_f16_e32 v13, v32, v36
	v_add_f16_e32 v23, v19, v0
	v_add_f16_e32 v26, v1, v2
	v_sub_f16_e32 v27, v19, v0
	v_sub_f16_e32 v28, v1, v2
	v_add_f16_e32 v10, v11, v10
	v_lshlrev_b32_e32 v31, 16, v20
	v_sub_f16_e32 v0, v0, v13
	v_sub_f16_e32 v2, v2, v14
	v_sub_f16_e32 v19, v13, v19
	v_sub_f16_e32 v1, v14, v1
	v_add_f16_e32 v13, v23, v13
	v_add_f16_e32 v14, v26, v14
	v_or_b32_sdwa v23, v31, v10 dst_sel:DWORD dst_unused:UNUSED_PAD src0_sel:DWORD src1_sel:WORD_0
	v_mul_f16_e32 v3, 0x3a52, v3
	v_mul_f16_e32 v12, 0x3a52, v12
	;; [unrolled: 1-line block ×8, first 2 shown]
	v_fmac_f16_e32 v10, 0xbcab, v11
	v_fmac_f16_e32 v20, 0xbcab, v18
	v_fmamk_f16 v11, v15, 0x2b26, v3
	v_fmamk_f16 v15, v17, 0x2b26, v12
	v_fma_f16 v17, v24, 0x39e0, -v26
	v_fma_f16 v18, v25, 0x39e0, -v31
	v_fma_f16 v3, v24, 0xb9e0, -v3
	v_fma_f16 v12, v25, 0xb9e0, -v12
	v_fmamk_f16 v24, v19, 0xb574, v27
	v_fmamk_f16 v25, v1, 0xb574, v28
	v_fma_f16 v0, v0, 0xbb00, -v27
	v_fma_f16 v2, v2, 0xbb00, -v28
	v_fma_f16 v19, v19, 0x3574, -v32
	v_fma_f16 v1, v1, 0x3574, -v33
	v_add_f16_e32 v11, v11, v10
	v_add_f16_e32 v15, v15, v20
	v_fmac_f16_e32 v24, 0xb70e, v13
	v_fmac_f16_e32 v25, 0xb70e, v14
	v_add_f16_e32 v17, v17, v10
	v_add_f16_e32 v18, v18, v20
	;; [unrolled: 1-line block ×4, first 2 shown]
	v_fmac_f16_e32 v0, 0xb70e, v13
	v_fmac_f16_e32 v1, 0xb70e, v14
	;; [unrolled: 1-line block ×4, first 2 shown]
	v_add_f16_e32 v12, v25, v11
	v_sub_f16_e32 v13, v15, v24
	v_add_f16_e32 v14, v1, v3
	v_sub_f16_e32 v20, v10, v19
	v_sub_f16_e32 v26, v17, v2
	v_add_f16_e32 v27, v0, v18
	v_add_f16_e32 v2, v2, v17
	v_sub_f16_e32 v0, v18, v0
	v_sub_f16_e32 v1, v3, v1
	v_add_f16_e32 v3, v19, v10
	v_sub_f16_e32 v10, v11, v25
	v_add_f16_e32 v11, v24, v15
	v_pack_b32_f16 v12, v12, v13
	v_pack_b32_f16 v13, v14, v20
	;; [unrolled: 1-line block ×6, first 2 shown]
	ds_write2_b32 v43, v23, v12 offset1:17
	ds_write2_b32 v43, v13, v14 offset0:34 offset1:51
	ds_write2_b32 v43, v0, v1 offset0:68 offset1:85
	ds_write_b32 v43, v2 offset:408
	s_waitcnt lgkmcnt(0)
	s_barrier
	buffer_gl0_inv
	ds_read2_b32 v[0:1], v29 offset1:119
	ds_read2_b32 v[2:3], v9 offset0:110 offset1:229
	ds_read2_b32 v[10:11], v16 offset0:92 offset1:211
	ds_read_b32 v12, v29 offset:2856
	s_waitcnt lgkmcnt(3)
	v_lshrrev_b32_e32 v13, 16, v1
	s_waitcnt lgkmcnt(2)
	v_lshrrev_b32_e32 v14, 16, v2
	v_lshrrev_b32_e32 v15, 16, v3
	v_mul_f16_sdwa v18, v4, v1 dst_sel:DWORD dst_unused:UNUSED_PAD src0_sel:WORD_1 src1_sel:DWORD
	s_waitcnt lgkmcnt(1)
	v_lshrrev_b32_e32 v19, 16, v10
	v_mul_f16_sdwa v17, v4, v13 dst_sel:DWORD dst_unused:UNUSED_PAD src0_sel:WORD_1 src1_sel:DWORD
	v_mul_f16_sdwa v24, v6, v3 dst_sel:DWORD dst_unused:UNUSED_PAD src0_sel:WORD_1 src1_sel:DWORD
	v_lshrrev_b32_e32 v20, 16, v11
	s_waitcnt lgkmcnt(0)
	v_lshrrev_b32_e32 v23, 16, v12
	v_mul_f16_sdwa v25, v7, v19 dst_sel:DWORD dst_unused:UNUSED_PAD src0_sel:WORD_1 src1_sel:DWORD
	v_fmac_f16_e32 v17, v4, v1
	v_fma_f16 v1, v4, v13, -v18
	v_mul_f16_sdwa v4, v5, v14 dst_sel:DWORD dst_unused:UNUSED_PAD src0_sel:WORD_1 src1_sel:DWORD
	v_mul_f16_sdwa v13, v5, v2 dst_sel:DWORD dst_unused:UNUSED_PAD src0_sel:WORD_1 src1_sel:DWORD
	;; [unrolled: 1-line block ×3, first 2 shown]
	v_fmac_f16_e32 v25, v7, v10
	v_mul_f16_sdwa v10, v7, v10 dst_sel:DWORD dst_unused:UNUSED_PAD src0_sel:WORD_1 src1_sel:DWORD
	v_fmac_f16_e32 v4, v5, v2
	v_fma_f16 v2, v5, v14, -v13
	v_fmac_f16_e32 v18, v6, v3
	v_fma_f16 v3, v6, v15, -v24
	v_mul_f16_sdwa v6, v22, v12 dst_sel:DWORD dst_unused:UNUSED_PAD src0_sel:WORD_1 src1_sel:DWORD
	v_mul_f16_sdwa v14, v21, v11 dst_sel:DWORD dst_unused:UNUSED_PAD src0_sel:WORD_1 src1_sel:DWORD
	v_mul_f16_sdwa v5, v22, v23 dst_sel:DWORD dst_unused:UNUSED_PAD src0_sel:WORD_1 src1_sel:DWORD
	v_mul_f16_sdwa v13, v21, v20 dst_sel:DWORD dst_unused:UNUSED_PAD src0_sel:WORD_1 src1_sel:DWORD
	v_fma_f16 v7, v7, v19, -v10
	v_fma_f16 v6, v22, v23, -v6
	;; [unrolled: 1-line block ×3, first 2 shown]
	v_fmac_f16_e32 v5, v22, v12
	v_fmac_f16_e32 v13, v21, v11
	v_sub_f16_e32 v15, v25, v18
	v_add_f16_e32 v12, v1, v6
	v_add_f16_e32 v14, v2, v10
	;; [unrolled: 1-line block ×3, first 2 shown]
	v_sub_f16_e32 v5, v17, v5
	v_sub_f16_e32 v1, v1, v6
	v_add_f16_e32 v6, v4, v13
	v_sub_f16_e32 v4, v4, v13
	v_add_f16_e32 v13, v3, v7
	v_add_f16_e32 v17, v14, v12
	v_sub_f16_e32 v2, v2, v10
	v_add_f16_e32 v10, v18, v25
	v_sub_f16_e32 v3, v7, v3
	v_add_f16_e32 v7, v6, v11
	v_sub_f16_e32 v19, v14, v12
	v_sub_f16_e32 v12, v12, v13
	v_sub_f16_e32 v14, v13, v14
	v_add_f16_e32 v13, v13, v17
	v_sub_f16_e32 v18, v6, v11
	v_sub_f16_e32 v11, v11, v10
	;; [unrolled: 1-line block ×3, first 2 shown]
	v_add_f16_e32 v7, v10, v7
	v_add_f16_sdwa v10, v13, v0 dst_sel:DWORD dst_unused:UNUSED_PAD src0_sel:DWORD src1_sel:WORD_1
	v_add_f16_e32 v17, v15, v4
	v_add_f16_e32 v20, v3, v2
	v_sub_f16_e32 v21, v15, v4
	v_sub_f16_e32 v22, v3, v2
	v_add_f16_e32 v0, v7, v0
	v_lshlrev_b32_e32 v23, 16, v10
	v_sub_f16_e32 v4, v4, v5
	v_sub_f16_e32 v2, v2, v1
	;; [unrolled: 1-line block ×4, first 2 shown]
	v_add_f16_e32 v5, v17, v5
	v_add_f16_e32 v1, v20, v1
	v_or_b32_sdwa v17, v23, v0 dst_sel:DWORD dst_unused:UNUSED_PAD src0_sel:DWORD src1_sel:WORD_0
	v_mul_f16_e32 v11, 0x3a52, v11
	v_mul_f16_e32 v12, 0x3a52, v12
	;; [unrolled: 1-line block ×8, first 2 shown]
	v_fmac_f16_e32 v0, 0xbcab, v7
	v_fmac_f16_e32 v10, 0xbcab, v13
	v_fmamk_f16 v6, v6, 0x2b26, v11
	v_fmamk_f16 v7, v14, 0x2b26, v12
	v_fma_f16 v13, v18, 0x39e0, -v20
	v_fma_f16 v14, v19, 0x39e0, -v23
	;; [unrolled: 1-line block ×4, first 2 shown]
	v_fmamk_f16 v18, v15, 0xb574, v21
	v_fmamk_f16 v19, v3, 0xb574, v22
	v_fma_f16 v4, v4, 0xbb00, -v21
	v_fma_f16 v2, v2, 0xbb00, -v22
	v_fma_f16 v15, v15, 0x3574, -v24
	v_fma_f16 v3, v3, 0x3574, -v25
	v_add_f16_e32 v6, v6, v0
	v_add_f16_e32 v7, v7, v10
	v_fmac_f16_e32 v18, 0xb70e, v5
	v_fmac_f16_e32 v19, 0xb70e, v1
	v_add_f16_e32 v13, v13, v0
	v_add_f16_e32 v14, v14, v10
	;; [unrolled: 1-line block ×4, first 2 shown]
	v_fmac_f16_e32 v4, 0xb70e, v5
	v_fmac_f16_e32 v3, 0xb70e, v1
	;; [unrolled: 1-line block ×4, first 2 shown]
	v_add_f16_e32 v1, v19, v6
	v_sub_f16_e32 v5, v7, v18
	v_add_f16_e32 v11, v3, v0
	v_sub_f16_e32 v12, v10, v15
	v_sub_f16_e32 v20, v13, v2
	v_add_f16_e32 v21, v4, v14
	v_add_f16_e32 v2, v2, v13
	v_sub_f16_e32 v4, v14, v4
	v_sub_f16_e32 v0, v0, v3
	v_add_f16_e32 v3, v15, v10
	v_sub_f16_e32 v6, v6, v19
	v_add_f16_e32 v7, v18, v7
	v_pack_b32_f16 v1, v1, v5
	v_pack_b32_f16 v5, v11, v12
	;; [unrolled: 1-line block ×6, first 2 shown]
	ds_write2_b32 v29, v17, v1 offset1:119
	ds_write2_b32 v9, v5, v10 offset0:110 offset1:229
	ds_write2_b32 v16, v2, v0 offset0:92 offset1:211
	ds_write_b32 v29, v3 offset:2856
	s_waitcnt lgkmcnt(0)
	s_barrier
	buffer_gl0_inv
	s_and_b32 exec_lo, exec_lo, vcc_lo
	s_cbranch_execz .LBB0_15
; %bb.14:
	global_load_dword v0, v29, s[8:9]
	ds_read_b32 v1, v29
	s_mov_b32 s12, 0xca869b81
	s_mov_b32 s13, 0x3f53ab2d
	v_mad_u64_u32 v[6:7], null, s4, v30, 0
	s_mul_hi_u32 s3, s4, 0xc4
	s_mulk_i32 s4, 0xc4
	s_waitcnt lgkmcnt(0)
	v_lshrrev_b32_e32 v2, 16, v1
	s_waitcnt vmcnt(0)
	v_mul_f16_sdwa v3, v2, v0 dst_sel:DWORD dst_unused:UNUSED_PAD src0_sel:DWORD src1_sel:WORD_1
	v_mul_f16_sdwa v4, v1, v0 dst_sel:DWORD dst_unused:UNUSED_PAD src0_sel:DWORD src1_sel:WORD_1
	v_fmac_f16_e32 v3, v1, v0
	v_fma_f16 v0, v0, v2, -v4
	v_mad_u64_u32 v[4:5], null, s6, v8, 0
	v_cvt_f32_f16_e32 v1, v3
	v_cvt_f32_f16_e32 v2, v0
	v_cvt_f64_f32_e32 v[0:1], v1
	v_cvt_f64_f32_e32 v[2:3], v2
	v_mul_f64 v[0:1], v[0:1], s[12:13]
	v_mul_f64 v[2:3], v[2:3], s[12:13]
	v_and_or_b32 v0, 0x1ff, v1, v0
	v_and_or_b32 v2, 0x1ff, v3, v2
	v_lshrrev_b32_e32 v10, 8, v1
	v_bfe_u32 v12, v1, 20, 11
	v_bfe_u32 v13, v3, 20, 11
	v_cmp_ne_u32_e32 vcc_lo, 0, v0
	v_lshrrev_b32_e32 v11, 8, v3
	v_mov_b32_e32 v0, v7
	v_sub_nc_u32_e32 v15, 0x3f1, v12
	v_sub_nc_u32_e32 v16, 0x3f1, v13
	v_cndmask_b32_e64 v14, 0, 1, vcc_lo
	v_cmp_ne_u32_e32 vcc_lo, 0, v2
	v_mad_u64_u32 v[7:8], null, s7, v8, v[5:6]
	v_med3_i32 v8, v15, 0, 13
	v_and_or_b32 v14, 0xffe, v10, v14
	v_cndmask_b32_e64 v2, 0, 1, vcc_lo
	v_med3_i32 v15, v16, 0, 13
	v_add_nc_u32_e32 v12, 0xfffffc10, v12
	v_add_nc_u32_e32 v13, 0xfffffc10, v13
	v_or_b32_e32 v16, 0x1000, v14
	v_and_or_b32 v2, 0xffe, v11, v2
	v_mad_u64_u32 v[10:11], null, s5, v30, v[0:1]
	v_mov_b32_e32 v5, v7
	v_lshrrev_b32_e32 v0, v8, v16
	v_or_b32_e32 v17, 0x1000, v2
	v_lshrrev_b32_e32 v3, 16, v3
	v_lshlrev_b64 v[4:5], 2, v[4:5]
	v_lshlrev_b32_e32 v8, v8, v0
	v_lshrrev_b32_e32 v11, v15, v17
	v_mov_b32_e32 v7, v10
	v_cmp_ne_u32_e32 vcc_lo, v8, v16
	v_lshlrev_b32_e32 v10, v15, v11
	v_lshl_or_b32 v15, v12, 12, v14
	v_cndmask_b32_e64 v8, 0, 1, vcc_lo
	v_cmp_ne_u32_e32 vcc_lo, v10, v17
	v_or_b32_e32 v0, v0, v8
	v_cndmask_b32_e64 v10, 0, 1, vcc_lo
	v_cmp_gt_i32_e32 vcc_lo, 1, v12
	v_lshl_or_b32 v8, v13, 12, v2
	v_or_b32_e32 v10, v11, v10
	v_cndmask_b32_e32 v0, v15, v0, vcc_lo
	v_cmp_gt_i32_e32 vcc_lo, 1, v13
	v_lshrrev_b32_e32 v11, 16, v1
	v_cndmask_b32_e32 v1, v8, v10, vcc_lo
	v_cmp_ne_u32_e32 vcc_lo, 0, v14
	v_and_b32_e32 v10, 7, v0
	v_lshrrev_b32_e32 v0, 2, v0
	v_and_b32_e32 v14, 7, v1
	v_cndmask_b32_e64 v8, 0, 1, vcc_lo
	v_cmp_ne_u32_e32 vcc_lo, 0, v2
	v_cmp_eq_u32_e64 s0, 3, v10
	v_lshrrev_b32_e32 v1, 2, v1
	v_cmp_lt_i32_e64 s1, 5, v14
	v_cmp_eq_u32_e64 s2, 3, v14
	v_cndmask_b32_e64 v2, 0, 1, vcc_lo
	v_cmp_lt_i32_e32 vcc_lo, 5, v10
	v_lshl_or_b32 v8, v8, 9, 0x7c00
	v_lshl_or_b32 v2, v2, 9, 0x7c00
	s_or_b32 vcc_lo, s0, vcc_lo
	v_add_co_ci_u32_e32 v0, vcc_lo, 0, v0, vcc_lo
	s_or_b32 vcc_lo, s2, s1
	v_add_co_ci_u32_e32 v1, vcc_lo, 0, v1, vcc_lo
	v_cmp_gt_i32_e32 vcc_lo, 31, v12
	v_cndmask_b32_e32 v0, 0x7c00, v0, vcc_lo
	v_cmp_gt_i32_e32 vcc_lo, 31, v13
	v_cndmask_b32_e32 v10, 0x7c00, v1, vcc_lo
	v_cmp_eq_u32_e32 vcc_lo, 0x40f, v12
	v_cndmask_b32_e32 v8, v0, v8, vcc_lo
	v_cmp_eq_u32_e32 vcc_lo, 0x40f, v13
	v_lshlrev_b64 v[0:1], 2, v[6:7]
	v_and_or_b32 v6, 0x8000, v11, v8
	v_cndmask_b32_e32 v2, v10, v2, vcc_lo
	v_add_co_u32 v4, vcc_lo, s10, v4
	v_add_co_ci_u32_e32 v5, vcc_lo, s11, v5, vcc_lo
	v_and_or_b32 v2, 0x8000, v3, v2
	v_and_b32_e32 v3, 0xffff, v6
	v_add_co_u32 v0, vcc_lo, v4, v0
	v_add_co_ci_u32_e32 v1, vcc_lo, v5, v1, vcc_lo
	v_lshl_or_b32 v2, v2, 16, v3
	global_store_dword v[0:1], v2, off
	global_load_dword v4, v29, s[8:9] offset:196
	ds_read2_b32 v[2:3], v29 offset0:49 offset1:98
	s_waitcnt lgkmcnt(0)
	v_lshrrev_b32_e32 v5, 16, v2
	s_waitcnt vmcnt(0)
	v_mul_f16_sdwa v6, v5, v4 dst_sel:DWORD dst_unused:UNUSED_PAD src0_sel:DWORD src1_sel:WORD_1
	v_mul_f16_sdwa v7, v2, v4 dst_sel:DWORD dst_unused:UNUSED_PAD src0_sel:DWORD src1_sel:WORD_1
	v_fmac_f16_e32 v6, v2, v4
	v_fma_f16 v2, v4, v5, -v7
	v_cvt_f32_f16_e32 v4, v6
	v_cvt_f32_f16_e32 v2, v2
	v_cvt_f64_f32_e32 v[4:5], v4
	v_cvt_f64_f32_e32 v[6:7], v2
	v_mul_f64 v[4:5], v[4:5], s[12:13]
	v_mul_f64 v[6:7], v[6:7], s[12:13]
	v_and_or_b32 v2, 0x1ff, v5, v4
	v_and_or_b32 v6, 0x1ff, v7, v6
	v_lshrrev_b32_e32 v4, 8, v5
	v_bfe_u32 v8, v5, 20, 11
	v_lshrrev_b32_e32 v10, 8, v7
	v_cmp_ne_u32_e32 vcc_lo, 0, v2
	v_bfe_u32 v11, v7, 20, 11
	v_lshrrev_b32_e32 v5, 16, v5
	v_sub_nc_u32_e32 v12, 0x3f1, v8
	v_add_nc_u32_e32 v8, 0xfffffc10, v8
	v_cndmask_b32_e64 v2, 0, 1, vcc_lo
	v_cmp_ne_u32_e32 vcc_lo, 0, v6
	v_lshrrev_b32_e32 v7, 16, v7
	v_and_or_b32 v2, 0xffe, v4, v2
	v_cndmask_b32_e64 v6, 0, 1, vcc_lo
	v_sub_nc_u32_e32 v4, 0x3f1, v11
	v_add_nc_u32_e32 v11, 0xfffffc10, v11
	v_and_or_b32 v6, 0xffe, v10, v6
	v_med3_i32 v10, v12, 0, 13
	v_or_b32_e32 v12, 0x1000, v2
	v_med3_i32 v4, v4, 0, 13
	v_or_b32_e32 v13, 0x1000, v6
	v_lshrrev_b32_e32 v14, v10, v12
	v_lshrrev_b32_e32 v15, v4, v13
	v_lshlrev_b32_e32 v10, v10, v14
	v_lshlrev_b32_e32 v4, v4, v15
	v_cmp_ne_u32_e32 vcc_lo, v10, v12
	v_lshl_or_b32 v12, v8, 12, v2
	v_cndmask_b32_e64 v10, 0, 1, vcc_lo
	v_cmp_ne_u32_e32 vcc_lo, v4, v13
	v_lshl_or_b32 v13, v11, 12, v6
	v_or_b32_e32 v10, v14, v10
	v_cndmask_b32_e64 v4, 0, 1, vcc_lo
	v_cmp_gt_i32_e32 vcc_lo, 1, v8
	v_or_b32_e32 v4, v15, v4
	v_cndmask_b32_e32 v10, v12, v10, vcc_lo
	v_cmp_gt_i32_e32 vcc_lo, 1, v11
	v_and_b32_e32 v12, 7, v10
	v_cndmask_b32_e32 v4, v13, v4, vcc_lo
	v_cmp_ne_u32_e32 vcc_lo, 0, v2
	v_lshrrev_b32_e32 v10, 2, v10
	v_cmp_eq_u32_e64 s0, 3, v12
	v_and_b32_e32 v13, 7, v4
	v_cndmask_b32_e64 v2, 0, 1, vcc_lo
	v_cmp_ne_u32_e32 vcc_lo, 0, v6
	v_lshrrev_b32_e32 v4, 2, v4
	v_cmp_lt_i32_e64 s1, 5, v13
	v_cmp_eq_u32_e64 s2, 3, v13
	v_cndmask_b32_e64 v6, 0, 1, vcc_lo
	v_cmp_lt_i32_e32 vcc_lo, 5, v12
	v_lshl_or_b32 v2, v2, 9, 0x7c00
	v_lshl_or_b32 v6, v6, 9, 0x7c00
	s_or_b32 vcc_lo, s0, vcc_lo
	s_mul_i32 s0, s5, 0xc4
	v_add_co_ci_u32_e32 v10, vcc_lo, 0, v10, vcc_lo
	s_or_b32 vcc_lo, s2, s1
	s_add_i32 s3, s3, s0
	v_add_co_ci_u32_e32 v4, vcc_lo, 0, v4, vcc_lo
	v_cmp_gt_i32_e32 vcc_lo, 31, v8
	v_cndmask_b32_e32 v10, 0x7c00, v10, vcc_lo
	v_cmp_gt_i32_e32 vcc_lo, 31, v11
	v_cndmask_b32_e32 v4, 0x7c00, v4, vcc_lo
	v_cmp_eq_u32_e32 vcc_lo, 0x40f, v8
	v_cndmask_b32_e32 v2, v10, v2, vcc_lo
	v_cmp_eq_u32_e32 vcc_lo, 0x40f, v11
	v_and_or_b32 v2, 0x8000, v5, v2
	v_cndmask_b32_e32 v4, v4, v6, vcc_lo
	v_add_co_u32 v0, vcc_lo, v0, s4
	v_add_co_ci_u32_e32 v1, vcc_lo, s3, v1, vcc_lo
	v_and_or_b32 v4, 0x8000, v7, v4
	v_and_b32_e32 v2, 0xffff, v2
	v_lshl_or_b32 v2, v4, 16, v2
	v_lshrrev_b32_e32 v4, 16, v3
	global_store_dword v[0:1], v2, off
	global_load_dword v2, v29, s[8:9] offset:392
	s_waitcnt vmcnt(0)
	v_mul_f16_sdwa v5, v4, v2 dst_sel:DWORD dst_unused:UNUSED_PAD src0_sel:DWORD src1_sel:WORD_1
	v_mul_f16_sdwa v6, v3, v2 dst_sel:DWORD dst_unused:UNUSED_PAD src0_sel:DWORD src1_sel:WORD_1
	v_fmac_f16_e32 v5, v3, v2
	v_fma_f16 v2, v2, v4, -v6
	v_cvt_f32_f16_e32 v3, v5
	v_cvt_f32_f16_e32 v4, v2
	v_cvt_f64_f32_e32 v[2:3], v3
	v_cvt_f64_f32_e32 v[4:5], v4
	v_mul_f64 v[2:3], v[2:3], s[12:13]
	v_mul_f64 v[4:5], v[4:5], s[12:13]
	v_and_or_b32 v2, 0x1ff, v3, v2
	v_and_or_b32 v4, 0x1ff, v5, v4
	v_lshrrev_b32_e32 v6, 8, v3
	v_bfe_u32 v7, v3, 20, 11
	v_lshrrev_b32_e32 v8, 8, v5
	v_cmp_ne_u32_e32 vcc_lo, 0, v2
	v_bfe_u32 v10, v5, 20, 11
	v_lshrrev_b32_e32 v3, 16, v3
	v_sub_nc_u32_e32 v11, 0x3f1, v7
	v_add_nc_u32_e32 v7, 0xfffffc10, v7
	v_cndmask_b32_e64 v2, 0, 1, vcc_lo
	v_cmp_ne_u32_e32 vcc_lo, 0, v4
	v_lshrrev_b32_e32 v5, 16, v5
	v_and_or_b32 v2, 0xffe, v6, v2
	v_cndmask_b32_e64 v4, 0, 1, vcc_lo
	v_sub_nc_u32_e32 v6, 0x3f1, v10
	v_add_nc_u32_e32 v10, 0xfffffc10, v10
	v_and_or_b32 v4, 0xffe, v8, v4
	v_med3_i32 v8, v11, 0, 13
	v_or_b32_e32 v11, 0x1000, v2
	v_med3_i32 v6, v6, 0, 13
	v_or_b32_e32 v12, 0x1000, v4
	v_lshrrev_b32_e32 v13, v8, v11
	v_lshrrev_b32_e32 v14, v6, v12
	v_lshlrev_b32_e32 v8, v8, v13
	v_lshlrev_b32_e32 v6, v6, v14
	v_cmp_ne_u32_e32 vcc_lo, v8, v11
	v_lshl_or_b32 v11, v7, 12, v2
	v_cndmask_b32_e64 v8, 0, 1, vcc_lo
	v_cmp_ne_u32_e32 vcc_lo, v6, v12
	v_lshl_or_b32 v12, v10, 12, v4
	v_or_b32_e32 v8, v13, v8
	v_cndmask_b32_e64 v6, 0, 1, vcc_lo
	v_cmp_gt_i32_e32 vcc_lo, 1, v7
	v_or_b32_e32 v6, v14, v6
	v_cndmask_b32_e32 v8, v11, v8, vcc_lo
	v_cmp_gt_i32_e32 vcc_lo, 1, v10
	v_and_b32_e32 v11, 7, v8
	v_cndmask_b32_e32 v6, v12, v6, vcc_lo
	v_cmp_ne_u32_e32 vcc_lo, 0, v2
	v_lshrrev_b32_e32 v8, 2, v8
	v_cmp_eq_u32_e64 s0, 3, v11
	v_and_b32_e32 v12, 7, v6
	v_cndmask_b32_e64 v2, 0, 1, vcc_lo
	v_cmp_ne_u32_e32 vcc_lo, 0, v4
	v_lshrrev_b32_e32 v6, 2, v6
	v_cmp_lt_i32_e64 s1, 5, v12
	v_cmp_eq_u32_e64 s2, 3, v12
	v_cndmask_b32_e64 v4, 0, 1, vcc_lo
	v_cmp_lt_i32_e32 vcc_lo, 5, v11
	v_lshl_or_b32 v2, v2, 9, 0x7c00
	v_lshl_or_b32 v4, v4, 9, 0x7c00
	s_or_b32 vcc_lo, s0, vcc_lo
	v_add_co_ci_u32_e32 v8, vcc_lo, 0, v8, vcc_lo
	s_or_b32 vcc_lo, s2, s1
	v_add_co_ci_u32_e32 v6, vcc_lo, 0, v6, vcc_lo
	v_cmp_gt_i32_e32 vcc_lo, 31, v7
	v_cndmask_b32_e32 v8, 0x7c00, v8, vcc_lo
	v_cmp_gt_i32_e32 vcc_lo, 31, v10
	v_cndmask_b32_e32 v6, 0x7c00, v6, vcc_lo
	v_cmp_eq_u32_e32 vcc_lo, 0x40f, v7
	v_cndmask_b32_e32 v2, v8, v2, vcc_lo
	v_cmp_eq_u32_e32 vcc_lo, 0x40f, v10
	v_and_or_b32 v2, 0x8000, v3, v2
	v_cndmask_b32_e32 v4, v6, v4, vcc_lo
	v_add_co_u32 v0, vcc_lo, v0, s4
	v_add_co_ci_u32_e32 v1, vcc_lo, s3, v1, vcc_lo
	v_and_or_b32 v3, 0x8000, v5, v4
	v_and_b32_e32 v2, 0xffff, v2
	v_lshl_or_b32 v2, v3, 16, v2
	global_store_dword v[0:1], v2, off
	global_load_dword v4, v29, s[8:9] offset:588
	ds_read2_b32 v[2:3], v29 offset0:147 offset1:196
	s_waitcnt lgkmcnt(0)
	v_lshrrev_b32_e32 v5, 16, v2
	s_waitcnt vmcnt(0)
	v_mul_f16_sdwa v6, v5, v4 dst_sel:DWORD dst_unused:UNUSED_PAD src0_sel:DWORD src1_sel:WORD_1
	v_mul_f16_sdwa v7, v2, v4 dst_sel:DWORD dst_unused:UNUSED_PAD src0_sel:DWORD src1_sel:WORD_1
	v_fmac_f16_e32 v6, v2, v4
	v_fma_f16 v2, v4, v5, -v7
	v_cvt_f32_f16_e32 v4, v6
	v_cvt_f32_f16_e32 v2, v2
	v_cvt_f64_f32_e32 v[4:5], v4
	v_cvt_f64_f32_e32 v[6:7], v2
	v_mul_f64 v[4:5], v[4:5], s[12:13]
	v_mul_f64 v[6:7], v[6:7], s[12:13]
	v_and_or_b32 v2, 0x1ff, v5, v4
	v_and_or_b32 v6, 0x1ff, v7, v6
	v_lshrrev_b32_e32 v4, 8, v5
	v_bfe_u32 v8, v5, 20, 11
	v_lshrrev_b32_e32 v10, 8, v7
	v_cmp_ne_u32_e32 vcc_lo, 0, v2
	v_bfe_u32 v11, v7, 20, 11
	v_lshrrev_b32_e32 v5, 16, v5
	v_sub_nc_u32_e32 v12, 0x3f1, v8
	v_add_nc_u32_e32 v8, 0xfffffc10, v8
	v_cndmask_b32_e64 v2, 0, 1, vcc_lo
	v_cmp_ne_u32_e32 vcc_lo, 0, v6
	v_lshrrev_b32_e32 v7, 16, v7
	v_and_or_b32 v2, 0xffe, v4, v2
	v_cndmask_b32_e64 v6, 0, 1, vcc_lo
	v_sub_nc_u32_e32 v4, 0x3f1, v11
	v_add_nc_u32_e32 v11, 0xfffffc10, v11
	v_and_or_b32 v6, 0xffe, v10, v6
	v_med3_i32 v10, v12, 0, 13
	v_or_b32_e32 v12, 0x1000, v2
	v_med3_i32 v4, v4, 0, 13
	v_or_b32_e32 v13, 0x1000, v6
	v_lshrrev_b32_e32 v14, v10, v12
	v_lshrrev_b32_e32 v15, v4, v13
	v_lshlrev_b32_e32 v10, v10, v14
	v_lshlrev_b32_e32 v4, v4, v15
	v_cmp_ne_u32_e32 vcc_lo, v10, v12
	v_lshl_or_b32 v12, v8, 12, v2
	v_cndmask_b32_e64 v10, 0, 1, vcc_lo
	v_cmp_ne_u32_e32 vcc_lo, v4, v13
	v_lshl_or_b32 v13, v11, 12, v6
	v_or_b32_e32 v10, v14, v10
	v_cndmask_b32_e64 v4, 0, 1, vcc_lo
	v_cmp_gt_i32_e32 vcc_lo, 1, v8
	v_or_b32_e32 v4, v15, v4
	v_cndmask_b32_e32 v10, v12, v10, vcc_lo
	v_cmp_gt_i32_e32 vcc_lo, 1, v11
	v_and_b32_e32 v12, 7, v10
	v_cndmask_b32_e32 v4, v13, v4, vcc_lo
	v_cmp_ne_u32_e32 vcc_lo, 0, v2
	v_lshrrev_b32_e32 v10, 2, v10
	v_cmp_eq_u32_e64 s0, 3, v12
	v_and_b32_e32 v13, 7, v4
	v_cndmask_b32_e64 v2, 0, 1, vcc_lo
	v_cmp_ne_u32_e32 vcc_lo, 0, v6
	v_lshrrev_b32_e32 v4, 2, v4
	v_cmp_lt_i32_e64 s1, 5, v13
	v_cmp_eq_u32_e64 s2, 3, v13
	v_cndmask_b32_e64 v6, 0, 1, vcc_lo
	v_cmp_lt_i32_e32 vcc_lo, 5, v12
	v_lshl_or_b32 v2, v2, 9, 0x7c00
	v_lshl_or_b32 v6, v6, 9, 0x7c00
	s_or_b32 vcc_lo, s0, vcc_lo
	v_add_co_ci_u32_e32 v10, vcc_lo, 0, v10, vcc_lo
	s_or_b32 vcc_lo, s2, s1
	v_add_co_ci_u32_e32 v4, vcc_lo, 0, v4, vcc_lo
	v_cmp_gt_i32_e32 vcc_lo, 31, v8
	v_cndmask_b32_e32 v10, 0x7c00, v10, vcc_lo
	v_cmp_gt_i32_e32 vcc_lo, 31, v11
	v_cndmask_b32_e32 v4, 0x7c00, v4, vcc_lo
	v_cmp_eq_u32_e32 vcc_lo, 0x40f, v8
	v_cndmask_b32_e32 v2, v10, v2, vcc_lo
	v_cmp_eq_u32_e32 vcc_lo, 0x40f, v11
	v_and_or_b32 v2, 0x8000, v5, v2
	v_cndmask_b32_e32 v4, v4, v6, vcc_lo
	v_add_co_u32 v0, vcc_lo, v0, s4
	v_add_co_ci_u32_e32 v1, vcc_lo, s3, v1, vcc_lo
	v_and_or_b32 v4, 0x8000, v7, v4
	v_and_b32_e32 v2, 0xffff, v2
	v_lshl_or_b32 v2, v4, 16, v2
	v_lshrrev_b32_e32 v4, 16, v3
	global_store_dword v[0:1], v2, off
	global_load_dword v2, v29, s[8:9] offset:784
	s_waitcnt vmcnt(0)
	v_mul_f16_sdwa v5, v4, v2 dst_sel:DWORD dst_unused:UNUSED_PAD src0_sel:DWORD src1_sel:WORD_1
	v_mul_f16_sdwa v6, v3, v2 dst_sel:DWORD dst_unused:UNUSED_PAD src0_sel:DWORD src1_sel:WORD_1
	v_fmac_f16_e32 v5, v3, v2
	v_fma_f16 v2, v2, v4, -v6
	v_cvt_f32_f16_e32 v3, v5
	v_cvt_f32_f16_e32 v4, v2
	v_cvt_f64_f32_e32 v[2:3], v3
	v_cvt_f64_f32_e32 v[4:5], v4
	v_mul_f64 v[2:3], v[2:3], s[12:13]
	v_mul_f64 v[4:5], v[4:5], s[12:13]
	v_and_or_b32 v2, 0x1ff, v3, v2
	v_and_or_b32 v4, 0x1ff, v5, v4
	v_lshrrev_b32_e32 v6, 8, v3
	v_bfe_u32 v7, v3, 20, 11
	v_lshrrev_b32_e32 v8, 8, v5
	v_cmp_ne_u32_e32 vcc_lo, 0, v2
	v_bfe_u32 v10, v5, 20, 11
	v_lshrrev_b32_e32 v3, 16, v3
	v_sub_nc_u32_e32 v11, 0x3f1, v7
	v_add_nc_u32_e32 v7, 0xfffffc10, v7
	v_cndmask_b32_e64 v2, 0, 1, vcc_lo
	v_cmp_ne_u32_e32 vcc_lo, 0, v4
	v_lshrrev_b32_e32 v5, 16, v5
	v_and_or_b32 v2, 0xffe, v6, v2
	v_cndmask_b32_e64 v4, 0, 1, vcc_lo
	v_sub_nc_u32_e32 v6, 0x3f1, v10
	v_add_nc_u32_e32 v10, 0xfffffc10, v10
	v_and_or_b32 v4, 0xffe, v8, v4
	v_med3_i32 v8, v11, 0, 13
	v_or_b32_e32 v11, 0x1000, v2
	v_med3_i32 v6, v6, 0, 13
	v_or_b32_e32 v12, 0x1000, v4
	v_lshrrev_b32_e32 v13, v8, v11
	v_lshrrev_b32_e32 v14, v6, v12
	v_lshlrev_b32_e32 v8, v8, v13
	v_lshlrev_b32_e32 v6, v6, v14
	v_cmp_ne_u32_e32 vcc_lo, v8, v11
	v_lshl_or_b32 v11, v7, 12, v2
	v_cndmask_b32_e64 v8, 0, 1, vcc_lo
	v_cmp_ne_u32_e32 vcc_lo, v6, v12
	v_lshl_or_b32 v12, v10, 12, v4
	v_or_b32_e32 v8, v13, v8
	v_cndmask_b32_e64 v6, 0, 1, vcc_lo
	v_cmp_gt_i32_e32 vcc_lo, 1, v7
	v_or_b32_e32 v6, v14, v6
	v_cndmask_b32_e32 v8, v11, v8, vcc_lo
	v_cmp_gt_i32_e32 vcc_lo, 1, v10
	v_and_b32_e32 v11, 7, v8
	v_cndmask_b32_e32 v6, v12, v6, vcc_lo
	v_cmp_ne_u32_e32 vcc_lo, 0, v2
	v_lshrrev_b32_e32 v8, 2, v8
	v_cmp_eq_u32_e64 s0, 3, v11
	v_and_b32_e32 v12, 7, v6
	v_cndmask_b32_e64 v2, 0, 1, vcc_lo
	v_cmp_ne_u32_e32 vcc_lo, 0, v4
	v_lshrrev_b32_e32 v6, 2, v6
	v_cmp_lt_i32_e64 s1, 5, v12
	v_cmp_eq_u32_e64 s2, 3, v12
	v_cndmask_b32_e64 v4, 0, 1, vcc_lo
	v_cmp_lt_i32_e32 vcc_lo, 5, v11
	v_lshl_or_b32 v2, v2, 9, 0x7c00
	v_lshl_or_b32 v4, v4, 9, 0x7c00
	s_or_b32 vcc_lo, s0, vcc_lo
	v_add_co_ci_u32_e32 v8, vcc_lo, 0, v8, vcc_lo
	s_or_b32 vcc_lo, s2, s1
	v_add_co_ci_u32_e32 v6, vcc_lo, 0, v6, vcc_lo
	v_cmp_gt_i32_e32 vcc_lo, 31, v7
	v_cndmask_b32_e32 v8, 0x7c00, v8, vcc_lo
	v_cmp_gt_i32_e32 vcc_lo, 31, v10
	v_cndmask_b32_e32 v6, 0x7c00, v6, vcc_lo
	v_cmp_eq_u32_e32 vcc_lo, 0x40f, v7
	v_cndmask_b32_e32 v2, v8, v2, vcc_lo
	v_cmp_eq_u32_e32 vcc_lo, 0x40f, v10
	v_and_or_b32 v2, 0x8000, v3, v2
	v_cndmask_b32_e32 v4, v6, v4, vcc_lo
	v_add_co_u32 v0, vcc_lo, v0, s4
	v_add_co_ci_u32_e32 v1, vcc_lo, s3, v1, vcc_lo
	v_and_or_b32 v3, 0x8000, v5, v4
	v_and_b32_e32 v2, 0xffff, v2
	v_lshl_or_b32 v2, v3, 16, v2
	global_store_dword v[0:1], v2, off
	global_load_dword v4, v29, s[8:9] offset:980
	ds_read2_b32 v[2:3], v9 offset0:117 offset1:166
	s_waitcnt lgkmcnt(0)
	v_lshrrev_b32_e32 v5, 16, v2
	s_waitcnt vmcnt(0)
	v_mul_f16_sdwa v6, v5, v4 dst_sel:DWORD dst_unused:UNUSED_PAD src0_sel:DWORD src1_sel:WORD_1
	v_mul_f16_sdwa v7, v2, v4 dst_sel:DWORD dst_unused:UNUSED_PAD src0_sel:DWORD src1_sel:WORD_1
	v_fmac_f16_e32 v6, v2, v4
	v_fma_f16 v2, v4, v5, -v7
	v_cvt_f32_f16_e32 v4, v6
	v_cvt_f32_f16_e32 v2, v2
	v_cvt_f64_f32_e32 v[4:5], v4
	v_cvt_f64_f32_e32 v[6:7], v2
	v_mul_f64 v[4:5], v[4:5], s[12:13]
	v_mul_f64 v[6:7], v[6:7], s[12:13]
	v_and_or_b32 v2, 0x1ff, v5, v4
	v_and_or_b32 v6, 0x1ff, v7, v6
	v_lshrrev_b32_e32 v4, 8, v5
	v_bfe_u32 v8, v5, 20, 11
	v_lshrrev_b32_e32 v9, 8, v7
	v_cmp_ne_u32_e32 vcc_lo, 0, v2
	v_bfe_u32 v10, v7, 20, 11
	v_lshrrev_b32_e32 v5, 16, v5
	v_sub_nc_u32_e32 v11, 0x3f1, v8
	v_add_nc_u32_e32 v8, 0xfffffc10, v8
	v_cndmask_b32_e64 v2, 0, 1, vcc_lo
	v_cmp_ne_u32_e32 vcc_lo, 0, v6
	v_lshrrev_b32_e32 v7, 16, v7
	v_and_or_b32 v2, 0xffe, v4, v2
	v_cndmask_b32_e64 v6, 0, 1, vcc_lo
	v_sub_nc_u32_e32 v4, 0x3f1, v10
	v_add_nc_u32_e32 v10, 0xfffffc10, v10
	v_and_or_b32 v6, 0xffe, v9, v6
	v_med3_i32 v9, v11, 0, 13
	v_or_b32_e32 v11, 0x1000, v2
	v_med3_i32 v4, v4, 0, 13
	v_or_b32_e32 v12, 0x1000, v6
	v_lshrrev_b32_e32 v13, v9, v11
	v_lshrrev_b32_e32 v14, v4, v12
	v_lshlrev_b32_e32 v9, v9, v13
	v_lshlrev_b32_e32 v4, v4, v14
	v_cmp_ne_u32_e32 vcc_lo, v9, v11
	v_lshl_or_b32 v11, v8, 12, v2
	v_cndmask_b32_e64 v9, 0, 1, vcc_lo
	v_cmp_ne_u32_e32 vcc_lo, v4, v12
	v_lshl_or_b32 v12, v10, 12, v6
	v_or_b32_e32 v9, v13, v9
	v_cndmask_b32_e64 v4, 0, 1, vcc_lo
	v_cmp_gt_i32_e32 vcc_lo, 1, v8
	v_or_b32_e32 v4, v14, v4
	v_cndmask_b32_e32 v9, v11, v9, vcc_lo
	v_cmp_gt_i32_e32 vcc_lo, 1, v10
	v_and_b32_e32 v11, 7, v9
	v_cndmask_b32_e32 v4, v12, v4, vcc_lo
	v_cmp_ne_u32_e32 vcc_lo, 0, v2
	v_lshrrev_b32_e32 v9, 2, v9
	v_cmp_eq_u32_e64 s0, 3, v11
	v_and_b32_e32 v12, 7, v4
	v_cndmask_b32_e64 v2, 0, 1, vcc_lo
	v_cmp_ne_u32_e32 vcc_lo, 0, v6
	v_lshrrev_b32_e32 v4, 2, v4
	v_cmp_lt_i32_e64 s1, 5, v12
	v_cmp_eq_u32_e64 s2, 3, v12
	v_cndmask_b32_e64 v6, 0, 1, vcc_lo
	v_cmp_lt_i32_e32 vcc_lo, 5, v11
	v_lshl_or_b32 v2, v2, 9, 0x7c00
	v_lshl_or_b32 v6, v6, 9, 0x7c00
	s_or_b32 vcc_lo, s0, vcc_lo
	v_add_co_ci_u32_e32 v9, vcc_lo, 0, v9, vcc_lo
	s_or_b32 vcc_lo, s2, s1
	v_add_co_ci_u32_e32 v4, vcc_lo, 0, v4, vcc_lo
	v_cmp_gt_i32_e32 vcc_lo, 31, v8
	v_cndmask_b32_e32 v9, 0x7c00, v9, vcc_lo
	v_cmp_gt_i32_e32 vcc_lo, 31, v10
	v_cndmask_b32_e32 v4, 0x7c00, v4, vcc_lo
	v_cmp_eq_u32_e32 vcc_lo, 0x40f, v8
	v_cndmask_b32_e32 v2, v9, v2, vcc_lo
	v_cmp_eq_u32_e32 vcc_lo, 0x40f, v10
	v_and_or_b32 v2, 0x8000, v5, v2
	v_cndmask_b32_e32 v4, v4, v6, vcc_lo
	v_add_co_u32 v0, vcc_lo, v0, s4
	v_add_co_ci_u32_e32 v1, vcc_lo, s3, v1, vcc_lo
	v_and_or_b32 v4, 0x8000, v7, v4
	v_and_b32_e32 v2, 0xffff, v2
	v_lshl_or_b32 v2, v4, 16, v2
	v_lshrrev_b32_e32 v4, 16, v3
	global_store_dword v[0:1], v2, off
	global_load_dword v2, v29, s[8:9] offset:1176
	s_waitcnt vmcnt(0)
	v_mul_f16_sdwa v5, v4, v2 dst_sel:DWORD dst_unused:UNUSED_PAD src0_sel:DWORD src1_sel:WORD_1
	v_mul_f16_sdwa v6, v3, v2 dst_sel:DWORD dst_unused:UNUSED_PAD src0_sel:DWORD src1_sel:WORD_1
	v_fmac_f16_e32 v5, v3, v2
	v_fma_f16 v2, v2, v4, -v6
	v_cvt_f32_f16_e32 v3, v5
	v_cvt_f32_f16_e32 v4, v2
	v_cvt_f64_f32_e32 v[2:3], v3
	v_cvt_f64_f32_e32 v[4:5], v4
	v_mul_f64 v[2:3], v[2:3], s[12:13]
	v_mul_f64 v[4:5], v[4:5], s[12:13]
	v_and_or_b32 v2, 0x1ff, v3, v2
	v_and_or_b32 v4, 0x1ff, v5, v4
	v_lshrrev_b32_e32 v6, 8, v3
	v_bfe_u32 v7, v3, 20, 11
	v_lshrrev_b32_e32 v8, 8, v5
	v_cmp_ne_u32_e32 vcc_lo, 0, v2
	v_bfe_u32 v9, v5, 20, 11
	v_lshrrev_b32_e32 v3, 16, v3
	v_sub_nc_u32_e32 v10, 0x3f1, v7
	v_add_nc_u32_e32 v7, 0xfffffc10, v7
	v_cndmask_b32_e64 v2, 0, 1, vcc_lo
	v_cmp_ne_u32_e32 vcc_lo, 0, v4
	v_lshrrev_b32_e32 v5, 16, v5
	v_and_or_b32 v2, 0xffe, v6, v2
	v_cndmask_b32_e64 v4, 0, 1, vcc_lo
	v_sub_nc_u32_e32 v6, 0x3f1, v9
	v_add_nc_u32_e32 v9, 0xfffffc10, v9
	v_and_or_b32 v4, 0xffe, v8, v4
	v_med3_i32 v8, v10, 0, 13
	v_or_b32_e32 v10, 0x1000, v2
	v_med3_i32 v6, v6, 0, 13
	v_or_b32_e32 v11, 0x1000, v4
	v_lshrrev_b32_e32 v12, v8, v10
	v_lshrrev_b32_e32 v13, v6, v11
	v_lshlrev_b32_e32 v8, v8, v12
	v_lshlrev_b32_e32 v6, v6, v13
	v_cmp_ne_u32_e32 vcc_lo, v8, v10
	v_lshl_or_b32 v10, v7, 12, v2
	v_cndmask_b32_e64 v8, 0, 1, vcc_lo
	v_cmp_ne_u32_e32 vcc_lo, v6, v11
	v_lshl_or_b32 v11, v9, 12, v4
	v_or_b32_e32 v8, v12, v8
	v_cndmask_b32_e64 v6, 0, 1, vcc_lo
	v_cmp_gt_i32_e32 vcc_lo, 1, v7
	v_or_b32_e32 v6, v13, v6
	v_cndmask_b32_e32 v8, v10, v8, vcc_lo
	v_cmp_gt_i32_e32 vcc_lo, 1, v9
	v_and_b32_e32 v10, 7, v8
	v_cndmask_b32_e32 v6, v11, v6, vcc_lo
	v_cmp_ne_u32_e32 vcc_lo, 0, v2
	v_lshrrev_b32_e32 v8, 2, v8
	v_cmp_eq_u32_e64 s0, 3, v10
	v_and_b32_e32 v11, 7, v6
	v_cndmask_b32_e64 v2, 0, 1, vcc_lo
	v_cmp_ne_u32_e32 vcc_lo, 0, v4
	v_lshrrev_b32_e32 v6, 2, v6
	v_cmp_lt_i32_e64 s1, 5, v11
	v_cmp_eq_u32_e64 s2, 3, v11
	v_cndmask_b32_e64 v4, 0, 1, vcc_lo
	v_cmp_lt_i32_e32 vcc_lo, 5, v10
	v_lshl_or_b32 v2, v2, 9, 0x7c00
	v_lshl_or_b32 v4, v4, 9, 0x7c00
	s_or_b32 vcc_lo, s0, vcc_lo
	v_add_co_ci_u32_e32 v8, vcc_lo, 0, v8, vcc_lo
	s_or_b32 vcc_lo, s2, s1
	v_add_co_ci_u32_e32 v6, vcc_lo, 0, v6, vcc_lo
	v_cmp_gt_i32_e32 vcc_lo, 31, v7
	v_cndmask_b32_e32 v8, 0x7c00, v8, vcc_lo
	v_cmp_gt_i32_e32 vcc_lo, 31, v9
	v_cndmask_b32_e32 v6, 0x7c00, v6, vcc_lo
	v_cmp_eq_u32_e32 vcc_lo, 0x40f, v7
	v_cndmask_b32_e32 v2, v8, v2, vcc_lo
	v_cmp_eq_u32_e32 vcc_lo, 0x40f, v9
	v_add_nc_u32_e32 v8, 0x400, v29
	v_and_or_b32 v2, 0x8000, v3, v2
	v_cndmask_b32_e32 v4, v6, v4, vcc_lo
	v_add_co_u32 v0, vcc_lo, v0, s4
	v_add_co_ci_u32_e32 v1, vcc_lo, s3, v1, vcc_lo
	v_and_or_b32 v3, 0x8000, v5, v4
	v_and_b32_e32 v2, 0xffff, v2
	v_lshl_or_b32 v2, v3, 16, v2
	global_store_dword v[0:1], v2, off
	global_load_dword v4, v29, s[8:9] offset:1372
	ds_read2_b32 v[2:3], v8 offset0:87 offset1:136
	s_waitcnt lgkmcnt(0)
	v_lshrrev_b32_e32 v5, 16, v2
	s_waitcnt vmcnt(0)
	v_mul_f16_sdwa v6, v5, v4 dst_sel:DWORD dst_unused:UNUSED_PAD src0_sel:DWORD src1_sel:WORD_1
	v_mul_f16_sdwa v7, v2, v4 dst_sel:DWORD dst_unused:UNUSED_PAD src0_sel:DWORD src1_sel:WORD_1
	v_fmac_f16_e32 v6, v2, v4
	v_fma_f16 v2, v4, v5, -v7
	v_cvt_f32_f16_e32 v4, v6
	v_cvt_f32_f16_e32 v2, v2
	v_cvt_f64_f32_e32 v[4:5], v4
	v_cvt_f64_f32_e32 v[6:7], v2
	v_mul_f64 v[4:5], v[4:5], s[12:13]
	v_mul_f64 v[6:7], v[6:7], s[12:13]
	v_and_or_b32 v2, 0x1ff, v5, v4
	v_and_or_b32 v6, 0x1ff, v7, v6
	v_lshrrev_b32_e32 v4, 8, v5
	v_bfe_u32 v9, v5, 20, 11
	v_lshrrev_b32_e32 v10, 8, v7
	v_cmp_ne_u32_e32 vcc_lo, 0, v2
	v_bfe_u32 v11, v7, 20, 11
	v_lshrrev_b32_e32 v5, 16, v5
	v_sub_nc_u32_e32 v12, 0x3f1, v9
	v_add_nc_u32_e32 v9, 0xfffffc10, v9
	v_cndmask_b32_e64 v2, 0, 1, vcc_lo
	v_cmp_ne_u32_e32 vcc_lo, 0, v6
	v_lshrrev_b32_e32 v7, 16, v7
	v_and_or_b32 v2, 0xffe, v4, v2
	v_cndmask_b32_e64 v6, 0, 1, vcc_lo
	v_sub_nc_u32_e32 v4, 0x3f1, v11
	v_add_nc_u32_e32 v11, 0xfffffc10, v11
	v_and_or_b32 v6, 0xffe, v10, v6
	v_med3_i32 v10, v12, 0, 13
	v_or_b32_e32 v12, 0x1000, v2
	v_med3_i32 v4, v4, 0, 13
	v_or_b32_e32 v13, 0x1000, v6
	v_lshrrev_b32_e32 v14, v10, v12
	v_lshrrev_b32_e32 v15, v4, v13
	v_lshlrev_b32_e32 v10, v10, v14
	v_lshlrev_b32_e32 v4, v4, v15
	v_cmp_ne_u32_e32 vcc_lo, v10, v12
	v_lshl_or_b32 v12, v9, 12, v2
	v_cndmask_b32_e64 v10, 0, 1, vcc_lo
	v_cmp_ne_u32_e32 vcc_lo, v4, v13
	v_lshl_or_b32 v13, v11, 12, v6
	v_or_b32_e32 v10, v14, v10
	v_cndmask_b32_e64 v4, 0, 1, vcc_lo
	v_cmp_gt_i32_e32 vcc_lo, 1, v9
	v_or_b32_e32 v4, v15, v4
	v_cndmask_b32_e32 v10, v12, v10, vcc_lo
	v_cmp_gt_i32_e32 vcc_lo, 1, v11
	v_and_b32_e32 v12, 7, v10
	v_cndmask_b32_e32 v4, v13, v4, vcc_lo
	v_cmp_ne_u32_e32 vcc_lo, 0, v2
	v_lshrrev_b32_e32 v10, 2, v10
	v_cmp_eq_u32_e64 s0, 3, v12
	v_and_b32_e32 v13, 7, v4
	v_cndmask_b32_e64 v2, 0, 1, vcc_lo
	v_cmp_ne_u32_e32 vcc_lo, 0, v6
	v_lshrrev_b32_e32 v4, 2, v4
	v_cmp_lt_i32_e64 s1, 5, v13
	v_cmp_eq_u32_e64 s2, 3, v13
	v_cndmask_b32_e64 v6, 0, 1, vcc_lo
	v_cmp_lt_i32_e32 vcc_lo, 5, v12
	v_lshl_or_b32 v2, v2, 9, 0x7c00
	v_lshl_or_b32 v6, v6, 9, 0x7c00
	s_or_b32 vcc_lo, s0, vcc_lo
	v_add_co_ci_u32_e32 v10, vcc_lo, 0, v10, vcc_lo
	s_or_b32 vcc_lo, s2, s1
	v_add_co_ci_u32_e32 v4, vcc_lo, 0, v4, vcc_lo
	v_cmp_gt_i32_e32 vcc_lo, 31, v9
	v_cndmask_b32_e32 v10, 0x7c00, v10, vcc_lo
	v_cmp_gt_i32_e32 vcc_lo, 31, v11
	v_cndmask_b32_e32 v4, 0x7c00, v4, vcc_lo
	v_cmp_eq_u32_e32 vcc_lo, 0x40f, v9
	v_cndmask_b32_e32 v2, v10, v2, vcc_lo
	v_cmp_eq_u32_e32 vcc_lo, 0x40f, v11
	v_and_or_b32 v2, 0x8000, v5, v2
	v_cndmask_b32_e32 v4, v4, v6, vcc_lo
	v_add_co_u32 v0, vcc_lo, v0, s4
	v_add_co_ci_u32_e32 v1, vcc_lo, s3, v1, vcc_lo
	v_and_or_b32 v4, 0x8000, v7, v4
	v_and_b32_e32 v2, 0xffff, v2
	v_lshl_or_b32 v2, v4, 16, v2
	v_lshrrev_b32_e32 v4, 16, v3
	global_store_dword v[0:1], v2, off
	global_load_dword v2, v29, s[8:9] offset:1568
	s_waitcnt vmcnt(0)
	v_mul_f16_sdwa v5, v4, v2 dst_sel:DWORD dst_unused:UNUSED_PAD src0_sel:DWORD src1_sel:WORD_1
	v_mul_f16_sdwa v6, v3, v2 dst_sel:DWORD dst_unused:UNUSED_PAD src0_sel:DWORD src1_sel:WORD_1
	v_fmac_f16_e32 v5, v3, v2
	v_fma_f16 v2, v2, v4, -v6
	v_cvt_f32_f16_e32 v3, v5
	v_cvt_f32_f16_e32 v4, v2
	v_cvt_f64_f32_e32 v[2:3], v3
	v_cvt_f64_f32_e32 v[4:5], v4
	v_mul_f64 v[2:3], v[2:3], s[12:13]
	v_mul_f64 v[4:5], v[4:5], s[12:13]
	v_and_or_b32 v2, 0x1ff, v3, v2
	v_and_or_b32 v4, 0x1ff, v5, v4
	v_lshrrev_b32_e32 v6, 8, v3
	v_bfe_u32 v7, v3, 20, 11
	v_lshrrev_b32_e32 v9, 8, v5
	v_cmp_ne_u32_e32 vcc_lo, 0, v2
	v_bfe_u32 v10, v5, 20, 11
	v_lshrrev_b32_e32 v3, 16, v3
	v_sub_nc_u32_e32 v11, 0x3f1, v7
	v_add_nc_u32_e32 v7, 0xfffffc10, v7
	v_cndmask_b32_e64 v2, 0, 1, vcc_lo
	v_cmp_ne_u32_e32 vcc_lo, 0, v4
	v_lshrrev_b32_e32 v5, 16, v5
	v_and_or_b32 v2, 0xffe, v6, v2
	v_cndmask_b32_e64 v4, 0, 1, vcc_lo
	v_sub_nc_u32_e32 v6, 0x3f1, v10
	v_add_nc_u32_e32 v10, 0xfffffc10, v10
	v_and_or_b32 v4, 0xffe, v9, v4
	v_med3_i32 v9, v11, 0, 13
	v_or_b32_e32 v11, 0x1000, v2
	v_med3_i32 v6, v6, 0, 13
	v_or_b32_e32 v12, 0x1000, v4
	v_lshrrev_b32_e32 v13, v9, v11
	v_lshrrev_b32_e32 v14, v6, v12
	v_lshlrev_b32_e32 v9, v9, v13
	v_lshlrev_b32_e32 v6, v6, v14
	v_cmp_ne_u32_e32 vcc_lo, v9, v11
	v_lshl_or_b32 v11, v7, 12, v2
	v_cndmask_b32_e64 v9, 0, 1, vcc_lo
	v_cmp_ne_u32_e32 vcc_lo, v6, v12
	v_lshl_or_b32 v12, v10, 12, v4
	v_or_b32_e32 v9, v13, v9
	v_cndmask_b32_e64 v6, 0, 1, vcc_lo
	v_cmp_gt_i32_e32 vcc_lo, 1, v7
	v_or_b32_e32 v6, v14, v6
	v_cndmask_b32_e32 v9, v11, v9, vcc_lo
	v_cmp_gt_i32_e32 vcc_lo, 1, v10
	v_and_b32_e32 v11, 7, v9
	v_cndmask_b32_e32 v6, v12, v6, vcc_lo
	v_cmp_ne_u32_e32 vcc_lo, 0, v2
	v_lshrrev_b32_e32 v9, 2, v9
	v_cmp_eq_u32_e64 s0, 3, v11
	v_and_b32_e32 v12, 7, v6
	v_cndmask_b32_e64 v2, 0, 1, vcc_lo
	v_cmp_ne_u32_e32 vcc_lo, 0, v4
	v_lshrrev_b32_e32 v6, 2, v6
	v_cmp_lt_i32_e64 s1, 5, v12
	v_cmp_eq_u32_e64 s2, 3, v12
	v_cndmask_b32_e64 v4, 0, 1, vcc_lo
	v_cmp_lt_i32_e32 vcc_lo, 5, v11
	v_lshl_or_b32 v2, v2, 9, 0x7c00
	v_lshl_or_b32 v4, v4, 9, 0x7c00
	s_or_b32 vcc_lo, s0, vcc_lo
	v_add_co_ci_u32_e32 v9, vcc_lo, 0, v9, vcc_lo
	s_or_b32 vcc_lo, s2, s1
	v_add_co_ci_u32_e32 v6, vcc_lo, 0, v6, vcc_lo
	v_cmp_gt_i32_e32 vcc_lo, 31, v7
	v_cndmask_b32_e32 v9, 0x7c00, v9, vcc_lo
	v_cmp_gt_i32_e32 vcc_lo, 31, v10
	v_cndmask_b32_e32 v6, 0x7c00, v6, vcc_lo
	v_cmp_eq_u32_e32 vcc_lo, 0x40f, v7
	v_cndmask_b32_e32 v2, v9, v2, vcc_lo
	v_cmp_eq_u32_e32 vcc_lo, 0x40f, v10
	v_and_or_b32 v2, 0x8000, v3, v2
	v_cndmask_b32_e32 v4, v6, v4, vcc_lo
	v_add_co_u32 v0, vcc_lo, v0, s4
	v_add_co_ci_u32_e32 v1, vcc_lo, s3, v1, vcc_lo
	v_and_or_b32 v3, 0x8000, v5, v4
	v_and_b32_e32 v2, 0xffff, v2
	v_lshl_or_b32 v2, v3, 16, v2
	global_store_dword v[0:1], v2, off
	global_load_dword v4, v29, s[8:9] offset:1764
	ds_read2_b32 v[2:3], v8 offset0:185 offset1:234
	s_waitcnt lgkmcnt(0)
	v_lshrrev_b32_e32 v5, 16, v2
	s_waitcnt vmcnt(0)
	v_mul_f16_sdwa v6, v5, v4 dst_sel:DWORD dst_unused:UNUSED_PAD src0_sel:DWORD src1_sel:WORD_1
	v_mul_f16_sdwa v7, v2, v4 dst_sel:DWORD dst_unused:UNUSED_PAD src0_sel:DWORD src1_sel:WORD_1
	v_fmac_f16_e32 v6, v2, v4
	v_fma_f16 v2, v4, v5, -v7
	v_cvt_f32_f16_e32 v4, v6
	v_cvt_f32_f16_e32 v2, v2
	v_cvt_f64_f32_e32 v[4:5], v4
	v_cvt_f64_f32_e32 v[6:7], v2
	v_mul_f64 v[4:5], v[4:5], s[12:13]
	v_mul_f64 v[6:7], v[6:7], s[12:13]
	v_and_or_b32 v2, 0x1ff, v5, v4
	v_and_or_b32 v6, 0x1ff, v7, v6
	v_lshrrev_b32_e32 v4, 8, v5
	v_bfe_u32 v8, v5, 20, 11
	v_lshrrev_b32_e32 v9, 8, v7
	v_cmp_ne_u32_e32 vcc_lo, 0, v2
	v_bfe_u32 v10, v7, 20, 11
	v_lshrrev_b32_e32 v5, 16, v5
	v_sub_nc_u32_e32 v11, 0x3f1, v8
	v_add_nc_u32_e32 v8, 0xfffffc10, v8
	v_cndmask_b32_e64 v2, 0, 1, vcc_lo
	v_cmp_ne_u32_e32 vcc_lo, 0, v6
	v_lshrrev_b32_e32 v7, 16, v7
	v_and_or_b32 v2, 0xffe, v4, v2
	v_cndmask_b32_e64 v6, 0, 1, vcc_lo
	v_sub_nc_u32_e32 v4, 0x3f1, v10
	v_add_nc_u32_e32 v10, 0xfffffc10, v10
	v_and_or_b32 v6, 0xffe, v9, v6
	v_med3_i32 v9, v11, 0, 13
	v_or_b32_e32 v11, 0x1000, v2
	v_med3_i32 v4, v4, 0, 13
	v_or_b32_e32 v12, 0x1000, v6
	v_lshrrev_b32_e32 v13, v9, v11
	v_lshrrev_b32_e32 v14, v4, v12
	v_lshlrev_b32_e32 v9, v9, v13
	v_lshlrev_b32_e32 v4, v4, v14
	v_cmp_ne_u32_e32 vcc_lo, v9, v11
	v_lshl_or_b32 v11, v8, 12, v2
	v_cndmask_b32_e64 v9, 0, 1, vcc_lo
	v_cmp_ne_u32_e32 vcc_lo, v4, v12
	v_lshl_or_b32 v12, v10, 12, v6
	v_or_b32_e32 v9, v13, v9
	v_cndmask_b32_e64 v4, 0, 1, vcc_lo
	v_cmp_gt_i32_e32 vcc_lo, 1, v8
	v_or_b32_e32 v4, v14, v4
	v_cndmask_b32_e32 v9, v11, v9, vcc_lo
	v_cmp_gt_i32_e32 vcc_lo, 1, v10
	v_and_b32_e32 v11, 7, v9
	v_cndmask_b32_e32 v4, v12, v4, vcc_lo
	v_cmp_ne_u32_e32 vcc_lo, 0, v2
	v_lshrrev_b32_e32 v9, 2, v9
	v_cmp_eq_u32_e64 s0, 3, v11
	v_and_b32_e32 v12, 7, v4
	v_cndmask_b32_e64 v2, 0, 1, vcc_lo
	v_cmp_ne_u32_e32 vcc_lo, 0, v6
	v_lshrrev_b32_e32 v4, 2, v4
	v_cmp_lt_i32_e64 s1, 5, v12
	v_cmp_eq_u32_e64 s2, 3, v12
	v_cndmask_b32_e64 v6, 0, 1, vcc_lo
	v_cmp_lt_i32_e32 vcc_lo, 5, v11
	v_lshl_or_b32 v2, v2, 9, 0x7c00
	v_lshl_or_b32 v6, v6, 9, 0x7c00
	s_or_b32 vcc_lo, s0, vcc_lo
	v_add_co_ci_u32_e32 v9, vcc_lo, 0, v9, vcc_lo
	s_or_b32 vcc_lo, s2, s1
	v_add_co_ci_u32_e32 v4, vcc_lo, 0, v4, vcc_lo
	v_cmp_gt_i32_e32 vcc_lo, 31, v8
	v_cndmask_b32_e32 v9, 0x7c00, v9, vcc_lo
	v_cmp_gt_i32_e32 vcc_lo, 31, v10
	v_cndmask_b32_e32 v4, 0x7c00, v4, vcc_lo
	v_cmp_eq_u32_e32 vcc_lo, 0x40f, v8
	v_cndmask_b32_e32 v2, v9, v2, vcc_lo
	v_cmp_eq_u32_e32 vcc_lo, 0x40f, v10
	v_and_or_b32 v2, 0x8000, v5, v2
	v_cndmask_b32_e32 v4, v4, v6, vcc_lo
	v_add_co_u32 v0, vcc_lo, v0, s4
	v_add_co_ci_u32_e32 v1, vcc_lo, s3, v1, vcc_lo
	v_and_or_b32 v4, 0x8000, v7, v4
	v_and_b32_e32 v2, 0xffff, v2
	v_lshl_or_b32 v2, v4, 16, v2
	v_lshrrev_b32_e32 v4, 16, v3
	global_store_dword v[0:1], v2, off
	global_load_dword v2, v29, s[8:9] offset:1960
	s_waitcnt vmcnt(0)
	v_mul_f16_sdwa v5, v4, v2 dst_sel:DWORD dst_unused:UNUSED_PAD src0_sel:DWORD src1_sel:WORD_1
	v_mul_f16_sdwa v6, v3, v2 dst_sel:DWORD dst_unused:UNUSED_PAD src0_sel:DWORD src1_sel:WORD_1
	v_fmac_f16_e32 v5, v3, v2
	v_fma_f16 v2, v2, v4, -v6
	v_cvt_f32_f16_e32 v3, v5
	v_cvt_f32_f16_e32 v4, v2
	v_cvt_f64_f32_e32 v[2:3], v3
	v_cvt_f64_f32_e32 v[4:5], v4
	v_mul_f64 v[2:3], v[2:3], s[12:13]
	v_mul_f64 v[4:5], v[4:5], s[12:13]
	v_and_or_b32 v2, 0x1ff, v3, v2
	v_and_or_b32 v4, 0x1ff, v5, v4
	v_lshrrev_b32_e32 v6, 8, v3
	v_bfe_u32 v7, v3, 20, 11
	v_lshrrev_b32_e32 v8, 8, v5
	v_cmp_ne_u32_e32 vcc_lo, 0, v2
	v_bfe_u32 v9, v5, 20, 11
	v_lshrrev_b32_e32 v3, 16, v3
	v_sub_nc_u32_e32 v10, 0x3f1, v7
	v_add_nc_u32_e32 v7, 0xfffffc10, v7
	v_cndmask_b32_e64 v2, 0, 1, vcc_lo
	v_cmp_ne_u32_e32 vcc_lo, 0, v4
	v_lshrrev_b32_e32 v5, 16, v5
	v_and_or_b32 v2, 0xffe, v6, v2
	v_cndmask_b32_e64 v4, 0, 1, vcc_lo
	v_sub_nc_u32_e32 v6, 0x3f1, v9
	v_add_nc_u32_e32 v9, 0xfffffc10, v9
	v_and_or_b32 v4, 0xffe, v8, v4
	v_med3_i32 v8, v10, 0, 13
	v_or_b32_e32 v10, 0x1000, v2
	v_med3_i32 v6, v6, 0, 13
	v_or_b32_e32 v11, 0x1000, v4
	v_lshrrev_b32_e32 v12, v8, v10
	v_lshrrev_b32_e32 v13, v6, v11
	v_lshlrev_b32_e32 v8, v8, v12
	v_lshlrev_b32_e32 v6, v6, v13
	v_cmp_ne_u32_e32 vcc_lo, v8, v10
	v_lshl_or_b32 v10, v7, 12, v2
	v_cndmask_b32_e64 v8, 0, 1, vcc_lo
	v_cmp_ne_u32_e32 vcc_lo, v6, v11
	v_lshl_or_b32 v11, v9, 12, v4
	v_or_b32_e32 v8, v12, v8
	v_cndmask_b32_e64 v6, 0, 1, vcc_lo
	v_cmp_gt_i32_e32 vcc_lo, 1, v7
	v_or_b32_e32 v6, v13, v6
	v_cndmask_b32_e32 v8, v10, v8, vcc_lo
	v_cmp_gt_i32_e32 vcc_lo, 1, v9
	v_and_b32_e32 v10, 7, v8
	v_cndmask_b32_e32 v6, v11, v6, vcc_lo
	v_cmp_ne_u32_e32 vcc_lo, 0, v2
	v_lshrrev_b32_e32 v8, 2, v8
	v_cmp_eq_u32_e64 s0, 3, v10
	v_and_b32_e32 v11, 7, v6
	v_cndmask_b32_e64 v2, 0, 1, vcc_lo
	v_cmp_ne_u32_e32 vcc_lo, 0, v4
	v_lshrrev_b32_e32 v6, 2, v6
	v_cmp_lt_i32_e64 s1, 5, v11
	v_cmp_eq_u32_e64 s2, 3, v11
	v_cndmask_b32_e64 v4, 0, 1, vcc_lo
	v_cmp_lt_i32_e32 vcc_lo, 5, v10
	v_lshl_or_b32 v2, v2, 9, 0x7c00
	v_add_nc_u32_e32 v10, 0x800, v29
	v_lshl_or_b32 v4, v4, 9, 0x7c00
	s_or_b32 vcc_lo, s0, vcc_lo
	v_add_co_ci_u32_e32 v8, vcc_lo, 0, v8, vcc_lo
	s_or_b32 vcc_lo, s2, s1
	v_add_co_ci_u32_e32 v6, vcc_lo, 0, v6, vcc_lo
	v_cmp_gt_i32_e32 vcc_lo, 31, v7
	v_cndmask_b32_e32 v8, 0x7c00, v8, vcc_lo
	v_cmp_gt_i32_e32 vcc_lo, 31, v9
	v_cndmask_b32_e32 v6, 0x7c00, v6, vcc_lo
	v_cmp_eq_u32_e32 vcc_lo, 0x40f, v7
	v_cndmask_b32_e32 v2, v8, v2, vcc_lo
	v_cmp_eq_u32_e32 vcc_lo, 0x40f, v9
	v_and_or_b32 v2, 0x8000, v3, v2
	v_cndmask_b32_e32 v4, v6, v4, vcc_lo
	v_add_co_u32 v6, s0, s8, v29
	v_add_co_ci_u32_e64 v7, null, s9, 0, s0
	v_and_or_b32 v4, 0x8000, v5, v4
	v_and_b32_e32 v5, 0xffff, v2
	v_add_co_u32 v2, vcc_lo, v0, s4
	v_add_co_ci_u32_e32 v3, vcc_lo, s3, v1, vcc_lo
	v_add_co_u32 v0, vcc_lo, 0x800, v6
	v_lshl_or_b32 v4, v4, 16, v5
	v_add_co_ci_u32_e32 v1, vcc_lo, 0, v7, vcc_lo
	global_store_dword v[2:3], v4, off
	global_load_dword v6, v[0:1], off offset:108
	ds_read2_b32 v[4:5], v10 offset0:27 offset1:76
	s_waitcnt lgkmcnt(0)
	v_lshrrev_b32_e32 v7, 16, v4
	s_waitcnt vmcnt(0)
	v_mul_f16_sdwa v8, v7, v6 dst_sel:DWORD dst_unused:UNUSED_PAD src0_sel:DWORD src1_sel:WORD_1
	v_mul_f16_sdwa v9, v4, v6 dst_sel:DWORD dst_unused:UNUSED_PAD src0_sel:DWORD src1_sel:WORD_1
	v_fmac_f16_e32 v8, v4, v6
	v_fma_f16 v4, v6, v7, -v9
	v_cvt_f32_f16_e32 v6, v8
	v_cvt_f32_f16_e32 v4, v4
	v_cvt_f64_f32_e32 v[6:7], v6
	v_cvt_f64_f32_e32 v[8:9], v4
	v_mul_f64 v[6:7], v[6:7], s[12:13]
	v_mul_f64 v[8:9], v[8:9], s[12:13]
	v_and_or_b32 v4, 0x1ff, v7, v6
	v_and_or_b32 v8, 0x1ff, v9, v8
	v_lshrrev_b32_e32 v6, 8, v7
	v_bfe_u32 v11, v7, 20, 11
	v_lshrrev_b32_e32 v12, 8, v9
	v_cmp_ne_u32_e32 vcc_lo, 0, v4
	v_bfe_u32 v13, v9, 20, 11
	v_lshrrev_b32_e32 v7, 16, v7
	v_sub_nc_u32_e32 v14, 0x3f1, v11
	v_add_nc_u32_e32 v11, 0xfffffc10, v11
	v_cndmask_b32_e64 v4, 0, 1, vcc_lo
	v_cmp_ne_u32_e32 vcc_lo, 0, v8
	v_lshrrev_b32_e32 v9, 16, v9
	v_and_or_b32 v4, 0xffe, v6, v4
	v_cndmask_b32_e64 v8, 0, 1, vcc_lo
	v_sub_nc_u32_e32 v6, 0x3f1, v13
	v_add_nc_u32_e32 v13, 0xfffffc10, v13
	v_and_or_b32 v8, 0xffe, v12, v8
	v_med3_i32 v12, v14, 0, 13
	v_or_b32_e32 v14, 0x1000, v4
	v_med3_i32 v6, v6, 0, 13
	v_or_b32_e32 v15, 0x1000, v8
	v_lshrrev_b32_e32 v16, v12, v14
	v_lshrrev_b32_e32 v17, v6, v15
	v_lshlrev_b32_e32 v12, v12, v16
	v_lshlrev_b32_e32 v6, v6, v17
	v_cmp_ne_u32_e32 vcc_lo, v12, v14
	v_lshl_or_b32 v14, v11, 12, v4
	v_cndmask_b32_e64 v12, 0, 1, vcc_lo
	v_cmp_ne_u32_e32 vcc_lo, v6, v15
	v_lshl_or_b32 v15, v13, 12, v8
	v_or_b32_e32 v12, v16, v12
	v_cndmask_b32_e64 v6, 0, 1, vcc_lo
	v_cmp_gt_i32_e32 vcc_lo, 1, v11
	v_or_b32_e32 v6, v17, v6
	v_cndmask_b32_e32 v12, v14, v12, vcc_lo
	v_cmp_gt_i32_e32 vcc_lo, 1, v13
	v_and_b32_e32 v14, 7, v12
	v_cndmask_b32_e32 v6, v15, v6, vcc_lo
	v_cmp_ne_u32_e32 vcc_lo, 0, v4
	v_lshrrev_b32_e32 v12, 2, v12
	v_cmp_eq_u32_e64 s0, 3, v14
	v_and_b32_e32 v15, 7, v6
	v_cndmask_b32_e64 v4, 0, 1, vcc_lo
	v_cmp_ne_u32_e32 vcc_lo, 0, v8
	v_lshrrev_b32_e32 v6, 2, v6
	v_cmp_lt_i32_e64 s1, 5, v15
	v_cmp_eq_u32_e64 s2, 3, v15
	v_cndmask_b32_e64 v8, 0, 1, vcc_lo
	v_cmp_lt_i32_e32 vcc_lo, 5, v14
	v_lshl_or_b32 v4, v4, 9, 0x7c00
	v_lshl_or_b32 v8, v8, 9, 0x7c00
	s_or_b32 vcc_lo, s0, vcc_lo
	v_add_co_ci_u32_e32 v12, vcc_lo, 0, v12, vcc_lo
	s_or_b32 vcc_lo, s2, s1
	v_add_co_ci_u32_e32 v6, vcc_lo, 0, v6, vcc_lo
	v_cmp_gt_i32_e32 vcc_lo, 31, v11
	v_cndmask_b32_e32 v12, 0x7c00, v12, vcc_lo
	v_cmp_gt_i32_e32 vcc_lo, 31, v13
	v_cndmask_b32_e32 v6, 0x7c00, v6, vcc_lo
	v_cmp_eq_u32_e32 vcc_lo, 0x40f, v11
	v_cndmask_b32_e32 v4, v12, v4, vcc_lo
	v_cmp_eq_u32_e32 vcc_lo, 0x40f, v13
	v_and_or_b32 v4, 0x8000, v7, v4
	v_cndmask_b32_e32 v6, v6, v8, vcc_lo
	v_add_co_u32 v2, vcc_lo, v2, s4
	v_add_co_ci_u32_e32 v3, vcc_lo, s3, v3, vcc_lo
	v_and_or_b32 v6, 0x8000, v9, v6
	v_and_b32_e32 v4, 0xffff, v4
	v_lshl_or_b32 v4, v6, 16, v4
	v_lshrrev_b32_e32 v6, 16, v5
	global_store_dword v[2:3], v4, off
	global_load_dword v4, v[0:1], off offset:304
	s_waitcnt vmcnt(0)
	v_mul_f16_sdwa v7, v6, v4 dst_sel:DWORD dst_unused:UNUSED_PAD src0_sel:DWORD src1_sel:WORD_1
	v_mul_f16_sdwa v8, v5, v4 dst_sel:DWORD dst_unused:UNUSED_PAD src0_sel:DWORD src1_sel:WORD_1
	v_fmac_f16_e32 v7, v5, v4
	v_fma_f16 v4, v4, v6, -v8
	v_cvt_f32_f16_e32 v5, v7
	v_cvt_f32_f16_e32 v6, v4
	v_cvt_f64_f32_e32 v[4:5], v5
	v_cvt_f64_f32_e32 v[6:7], v6
	v_mul_f64 v[4:5], v[4:5], s[12:13]
	v_mul_f64 v[6:7], v[6:7], s[12:13]
	v_and_or_b32 v4, 0x1ff, v5, v4
	v_and_or_b32 v6, 0x1ff, v7, v6
	v_lshrrev_b32_e32 v8, 8, v5
	v_bfe_u32 v9, v5, 20, 11
	v_lshrrev_b32_e32 v11, 8, v7
	v_cmp_ne_u32_e32 vcc_lo, 0, v4
	v_bfe_u32 v12, v7, 20, 11
	v_lshrrev_b32_e32 v5, 16, v5
	v_sub_nc_u32_e32 v13, 0x3f1, v9
	v_add_nc_u32_e32 v9, 0xfffffc10, v9
	v_cndmask_b32_e64 v4, 0, 1, vcc_lo
	v_cmp_ne_u32_e32 vcc_lo, 0, v6
	v_lshrrev_b32_e32 v7, 16, v7
	v_and_or_b32 v4, 0xffe, v8, v4
	v_cndmask_b32_e64 v6, 0, 1, vcc_lo
	v_sub_nc_u32_e32 v8, 0x3f1, v12
	v_add_nc_u32_e32 v12, 0xfffffc10, v12
	v_and_or_b32 v6, 0xffe, v11, v6
	v_med3_i32 v11, v13, 0, 13
	v_or_b32_e32 v13, 0x1000, v4
	v_med3_i32 v8, v8, 0, 13
	v_or_b32_e32 v14, 0x1000, v6
	v_lshrrev_b32_e32 v15, v11, v13
	v_lshrrev_b32_e32 v16, v8, v14
	v_lshlrev_b32_e32 v11, v11, v15
	v_lshlrev_b32_e32 v8, v8, v16
	v_cmp_ne_u32_e32 vcc_lo, v11, v13
	v_lshl_or_b32 v13, v9, 12, v4
	v_cndmask_b32_e64 v11, 0, 1, vcc_lo
	v_cmp_ne_u32_e32 vcc_lo, v8, v14
	v_lshl_or_b32 v14, v12, 12, v6
	v_or_b32_e32 v11, v15, v11
	v_cndmask_b32_e64 v8, 0, 1, vcc_lo
	v_cmp_gt_i32_e32 vcc_lo, 1, v9
	v_or_b32_e32 v8, v16, v8
	v_cndmask_b32_e32 v11, v13, v11, vcc_lo
	v_cmp_gt_i32_e32 vcc_lo, 1, v12
	v_and_b32_e32 v13, 7, v11
	v_cndmask_b32_e32 v8, v14, v8, vcc_lo
	v_cmp_ne_u32_e32 vcc_lo, 0, v4
	v_lshrrev_b32_e32 v11, 2, v11
	v_cmp_eq_u32_e64 s0, 3, v13
	v_and_b32_e32 v14, 7, v8
	v_cndmask_b32_e64 v4, 0, 1, vcc_lo
	v_cmp_ne_u32_e32 vcc_lo, 0, v6
	v_lshrrev_b32_e32 v8, 2, v8
	v_cmp_lt_i32_e64 s1, 5, v14
	v_cmp_eq_u32_e64 s2, 3, v14
	v_cndmask_b32_e64 v6, 0, 1, vcc_lo
	v_cmp_lt_i32_e32 vcc_lo, 5, v13
	v_lshl_or_b32 v4, v4, 9, 0x7c00
	v_lshl_or_b32 v6, v6, 9, 0x7c00
	s_or_b32 vcc_lo, s0, vcc_lo
	v_add_co_ci_u32_e32 v11, vcc_lo, 0, v11, vcc_lo
	s_or_b32 vcc_lo, s2, s1
	v_add_co_ci_u32_e32 v8, vcc_lo, 0, v8, vcc_lo
	v_cmp_gt_i32_e32 vcc_lo, 31, v9
	v_cndmask_b32_e32 v11, 0x7c00, v11, vcc_lo
	v_cmp_gt_i32_e32 vcc_lo, 31, v12
	v_cndmask_b32_e32 v8, 0x7c00, v8, vcc_lo
	v_cmp_eq_u32_e32 vcc_lo, 0x40f, v9
	v_cndmask_b32_e32 v4, v11, v4, vcc_lo
	v_cmp_eq_u32_e32 vcc_lo, 0x40f, v12
	v_and_or_b32 v4, 0x8000, v5, v4
	v_cndmask_b32_e32 v6, v8, v6, vcc_lo
	v_add_co_u32 v2, vcc_lo, v2, s4
	v_add_co_ci_u32_e32 v3, vcc_lo, s3, v3, vcc_lo
	v_and_or_b32 v5, 0x8000, v7, v6
	v_and_b32_e32 v4, 0xffff, v4
	v_lshl_or_b32 v4, v5, 16, v4
	global_store_dword v[2:3], v4, off
	global_load_dword v6, v[0:1], off offset:500
	ds_read2_b32 v[4:5], v10 offset0:125 offset1:174
	s_waitcnt lgkmcnt(0)
	v_lshrrev_b32_e32 v7, 16, v4
	s_waitcnt vmcnt(0)
	v_mul_f16_sdwa v8, v7, v6 dst_sel:DWORD dst_unused:UNUSED_PAD src0_sel:DWORD src1_sel:WORD_1
	v_mul_f16_sdwa v9, v4, v6 dst_sel:DWORD dst_unused:UNUSED_PAD src0_sel:DWORD src1_sel:WORD_1
	v_fmac_f16_e32 v8, v4, v6
	v_fma_f16 v4, v6, v7, -v9
	v_cvt_f32_f16_e32 v6, v8
	v_cvt_f32_f16_e32 v4, v4
	v_cvt_f64_f32_e32 v[6:7], v6
	v_cvt_f64_f32_e32 v[8:9], v4
	v_mul_f64 v[6:7], v[6:7], s[12:13]
	v_mul_f64 v[8:9], v[8:9], s[12:13]
	v_and_or_b32 v4, 0x1ff, v7, v6
	v_and_or_b32 v8, 0x1ff, v9, v8
	v_lshrrev_b32_e32 v6, 8, v7
	v_bfe_u32 v10, v7, 20, 11
	v_lshrrev_b32_e32 v11, 8, v9
	v_cmp_ne_u32_e32 vcc_lo, 0, v4
	v_bfe_u32 v12, v9, 20, 11
	v_lshrrev_b32_e32 v7, 16, v7
	v_sub_nc_u32_e32 v13, 0x3f1, v10
	v_add_nc_u32_e32 v10, 0xfffffc10, v10
	v_cndmask_b32_e64 v4, 0, 1, vcc_lo
	v_cmp_ne_u32_e32 vcc_lo, 0, v8
	v_lshrrev_b32_e32 v9, 16, v9
	v_and_or_b32 v4, 0xffe, v6, v4
	v_cndmask_b32_e64 v8, 0, 1, vcc_lo
	v_sub_nc_u32_e32 v6, 0x3f1, v12
	v_add_nc_u32_e32 v12, 0xfffffc10, v12
	v_and_or_b32 v8, 0xffe, v11, v8
	v_med3_i32 v11, v13, 0, 13
	v_or_b32_e32 v13, 0x1000, v4
	v_med3_i32 v6, v6, 0, 13
	v_or_b32_e32 v14, 0x1000, v8
	v_lshrrev_b32_e32 v15, v11, v13
	v_lshrrev_b32_e32 v16, v6, v14
	v_lshlrev_b32_e32 v11, v11, v15
	v_lshlrev_b32_e32 v6, v6, v16
	v_cmp_ne_u32_e32 vcc_lo, v11, v13
	v_lshl_or_b32 v13, v10, 12, v4
	v_cndmask_b32_e64 v11, 0, 1, vcc_lo
	v_cmp_ne_u32_e32 vcc_lo, v6, v14
	v_lshl_or_b32 v14, v12, 12, v8
	v_or_b32_e32 v11, v15, v11
	v_cndmask_b32_e64 v6, 0, 1, vcc_lo
	v_cmp_gt_i32_e32 vcc_lo, 1, v10
	v_or_b32_e32 v6, v16, v6
	v_cndmask_b32_e32 v11, v13, v11, vcc_lo
	v_cmp_gt_i32_e32 vcc_lo, 1, v12
	v_and_b32_e32 v13, 7, v11
	v_cndmask_b32_e32 v6, v14, v6, vcc_lo
	v_cmp_ne_u32_e32 vcc_lo, 0, v4
	v_lshrrev_b32_e32 v11, 2, v11
	v_cmp_eq_u32_e64 s0, 3, v13
	v_and_b32_e32 v14, 7, v6
	v_cndmask_b32_e64 v4, 0, 1, vcc_lo
	v_cmp_ne_u32_e32 vcc_lo, 0, v8
	v_lshrrev_b32_e32 v6, 2, v6
	v_cmp_lt_i32_e64 s1, 5, v14
	v_cmp_eq_u32_e64 s2, 3, v14
	v_cndmask_b32_e64 v8, 0, 1, vcc_lo
	v_cmp_lt_i32_e32 vcc_lo, 5, v13
	v_lshl_or_b32 v4, v4, 9, 0x7c00
	v_lshl_or_b32 v8, v8, 9, 0x7c00
	s_or_b32 vcc_lo, s0, vcc_lo
	v_add_co_ci_u32_e32 v11, vcc_lo, 0, v11, vcc_lo
	s_or_b32 vcc_lo, s2, s1
	v_add_co_ci_u32_e32 v6, vcc_lo, 0, v6, vcc_lo
	v_cmp_gt_i32_e32 vcc_lo, 31, v10
	v_cndmask_b32_e32 v11, 0x7c00, v11, vcc_lo
	v_cmp_gt_i32_e32 vcc_lo, 31, v12
	v_cndmask_b32_e32 v6, 0x7c00, v6, vcc_lo
	v_cmp_eq_u32_e32 vcc_lo, 0x40f, v10
	v_cndmask_b32_e32 v4, v11, v4, vcc_lo
	v_cmp_eq_u32_e32 vcc_lo, 0x40f, v12
	v_and_or_b32 v4, 0x8000, v7, v4
	v_cndmask_b32_e32 v6, v6, v8, vcc_lo
	v_add_co_u32 v2, vcc_lo, v2, s4
	v_add_co_ci_u32_e32 v3, vcc_lo, s3, v3, vcc_lo
	v_and_or_b32 v6, 0x8000, v9, v6
	v_and_b32_e32 v4, 0xffff, v4
	v_lshl_or_b32 v4, v6, 16, v4
	v_lshrrev_b32_e32 v6, 16, v5
	global_store_dword v[2:3], v4, off
	global_load_dword v4, v[0:1], off offset:696
	s_waitcnt vmcnt(0)
	v_mul_f16_sdwa v7, v6, v4 dst_sel:DWORD dst_unused:UNUSED_PAD src0_sel:DWORD src1_sel:WORD_1
	v_mul_f16_sdwa v8, v5, v4 dst_sel:DWORD dst_unused:UNUSED_PAD src0_sel:DWORD src1_sel:WORD_1
	v_fmac_f16_e32 v7, v5, v4
	v_fma_f16 v4, v4, v6, -v8
	v_cvt_f32_f16_e32 v5, v7
	v_cvt_f32_f16_e32 v6, v4
	v_cvt_f64_f32_e32 v[4:5], v5
	v_cvt_f64_f32_e32 v[6:7], v6
	v_mul_f64 v[4:5], v[4:5], s[12:13]
	v_mul_f64 v[6:7], v[6:7], s[12:13]
	v_and_or_b32 v4, 0x1ff, v5, v4
	v_and_or_b32 v6, 0x1ff, v7, v6
	v_lshrrev_b32_e32 v8, 8, v5
	v_bfe_u32 v9, v5, 20, 11
	v_lshrrev_b32_e32 v10, 8, v7
	v_cmp_ne_u32_e32 vcc_lo, 0, v4
	v_bfe_u32 v11, v7, 20, 11
	v_lshrrev_b32_e32 v5, 16, v5
	v_sub_nc_u32_e32 v12, 0x3f1, v9
	v_add_nc_u32_e32 v9, 0xfffffc10, v9
	v_cndmask_b32_e64 v4, 0, 1, vcc_lo
	v_cmp_ne_u32_e32 vcc_lo, 0, v6
	v_lshrrev_b32_e32 v7, 16, v7
	v_and_or_b32 v4, 0xffe, v8, v4
	v_cndmask_b32_e64 v6, 0, 1, vcc_lo
	v_sub_nc_u32_e32 v8, 0x3f1, v11
	v_add_nc_u32_e32 v11, 0xfffffc10, v11
	v_and_or_b32 v6, 0xffe, v10, v6
	v_med3_i32 v10, v12, 0, 13
	v_or_b32_e32 v12, 0x1000, v4
	v_med3_i32 v8, v8, 0, 13
	v_or_b32_e32 v13, 0x1000, v6
	v_lshrrev_b32_e32 v14, v10, v12
	v_lshrrev_b32_e32 v15, v8, v13
	v_lshlrev_b32_e32 v10, v10, v14
	v_lshlrev_b32_e32 v8, v8, v15
	v_cmp_ne_u32_e32 vcc_lo, v10, v12
	v_lshl_or_b32 v12, v9, 12, v4
	v_cndmask_b32_e64 v10, 0, 1, vcc_lo
	v_cmp_ne_u32_e32 vcc_lo, v8, v13
	v_lshl_or_b32 v13, v11, 12, v6
	v_or_b32_e32 v10, v14, v10
	v_cndmask_b32_e64 v8, 0, 1, vcc_lo
	v_cmp_gt_i32_e32 vcc_lo, 1, v9
	v_or_b32_e32 v8, v15, v8
	v_cndmask_b32_e32 v10, v12, v10, vcc_lo
	v_cmp_gt_i32_e32 vcc_lo, 1, v11
	v_and_b32_e32 v12, 7, v10
	v_cndmask_b32_e32 v8, v13, v8, vcc_lo
	v_cmp_ne_u32_e32 vcc_lo, 0, v4
	v_lshrrev_b32_e32 v10, 2, v10
	v_cmp_eq_u32_e64 s0, 3, v12
	v_and_b32_e32 v13, 7, v8
	v_cndmask_b32_e64 v4, 0, 1, vcc_lo
	v_cmp_ne_u32_e32 vcc_lo, 0, v6
	v_lshrrev_b32_e32 v8, 2, v8
	v_cmp_lt_i32_e64 s1, 5, v13
	v_cmp_eq_u32_e64 s2, 3, v13
	v_cndmask_b32_e64 v6, 0, 1, vcc_lo
	v_cmp_lt_i32_e32 vcc_lo, 5, v12
	v_lshl_or_b32 v4, v4, 9, 0x7c00
	v_lshl_or_b32 v6, v6, 9, 0x7c00
	s_or_b32 vcc_lo, s0, vcc_lo
	v_add_co_ci_u32_e32 v10, vcc_lo, 0, v10, vcc_lo
	s_or_b32 vcc_lo, s2, s1
	v_add_co_ci_u32_e32 v8, vcc_lo, 0, v8, vcc_lo
	v_cmp_gt_i32_e32 vcc_lo, 31, v9
	v_cndmask_b32_e32 v10, 0x7c00, v10, vcc_lo
	v_cmp_gt_i32_e32 vcc_lo, 31, v11
	v_cndmask_b32_e32 v8, 0x7c00, v8, vcc_lo
	v_cmp_eq_u32_e32 vcc_lo, 0x40f, v9
	v_cndmask_b32_e32 v4, v10, v4, vcc_lo
	v_cmp_eq_u32_e32 vcc_lo, 0x40f, v11
	v_and_or_b32 v4, 0x8000, v5, v4
	v_cndmask_b32_e32 v6, v8, v6, vcc_lo
	v_add_co_u32 v2, vcc_lo, v2, s4
	v_add_co_ci_u32_e32 v3, vcc_lo, s3, v3, vcc_lo
	v_and_or_b32 v5, 0x8000, v7, v6
	v_and_b32_e32 v4, 0xffff, v4
	v_lshl_or_b32 v4, v5, 16, v4
	global_store_dword v[2:3], v4, off
	global_load_dword v6, v[0:1], off offset:892
	v_add_nc_u32_e32 v4, 0xa00, v29
	ds_read2_b32 v[4:5], v4 offset0:95 offset1:144
	s_waitcnt lgkmcnt(0)
	v_lshrrev_b32_e32 v7, 16, v4
	s_waitcnt vmcnt(0)
	v_mul_f16_sdwa v8, v7, v6 dst_sel:DWORD dst_unused:UNUSED_PAD src0_sel:DWORD src1_sel:WORD_1
	v_mul_f16_sdwa v9, v4, v6 dst_sel:DWORD dst_unused:UNUSED_PAD src0_sel:DWORD src1_sel:WORD_1
	v_fmac_f16_e32 v8, v4, v6
	v_fma_f16 v4, v6, v7, -v9
	v_cvt_f32_f16_e32 v6, v8
	v_cvt_f32_f16_e32 v4, v4
	v_cvt_f64_f32_e32 v[6:7], v6
	v_cvt_f64_f32_e32 v[8:9], v4
	v_mul_f64 v[6:7], v[6:7], s[12:13]
	v_mul_f64 v[8:9], v[8:9], s[12:13]
	v_and_or_b32 v4, 0x1ff, v7, v6
	v_and_or_b32 v8, 0x1ff, v9, v8
	v_lshrrev_b32_e32 v6, 8, v7
	v_bfe_u32 v10, v7, 20, 11
	v_lshrrev_b32_e32 v11, 8, v9
	v_cmp_ne_u32_e32 vcc_lo, 0, v4
	v_bfe_u32 v12, v9, 20, 11
	v_lshrrev_b32_e32 v7, 16, v7
	v_sub_nc_u32_e32 v13, 0x3f1, v10
	v_add_nc_u32_e32 v10, 0xfffffc10, v10
	v_cndmask_b32_e64 v4, 0, 1, vcc_lo
	v_cmp_ne_u32_e32 vcc_lo, 0, v8
	v_lshrrev_b32_e32 v9, 16, v9
	v_and_or_b32 v4, 0xffe, v6, v4
	v_cndmask_b32_e64 v8, 0, 1, vcc_lo
	v_sub_nc_u32_e32 v6, 0x3f1, v12
	v_add_nc_u32_e32 v12, 0xfffffc10, v12
	v_and_or_b32 v8, 0xffe, v11, v8
	v_med3_i32 v11, v13, 0, 13
	v_or_b32_e32 v13, 0x1000, v4
	v_med3_i32 v6, v6, 0, 13
	v_or_b32_e32 v14, 0x1000, v8
	v_lshrrev_b32_e32 v15, v11, v13
	v_lshrrev_b32_e32 v16, v6, v14
	v_lshlrev_b32_e32 v11, v11, v15
	v_lshlrev_b32_e32 v6, v6, v16
	v_cmp_ne_u32_e32 vcc_lo, v11, v13
	v_lshl_or_b32 v13, v10, 12, v4
	v_cndmask_b32_e64 v11, 0, 1, vcc_lo
	v_cmp_ne_u32_e32 vcc_lo, v6, v14
	v_lshl_or_b32 v14, v12, 12, v8
	v_or_b32_e32 v11, v15, v11
	v_cndmask_b32_e64 v6, 0, 1, vcc_lo
	v_cmp_gt_i32_e32 vcc_lo, 1, v10
	v_or_b32_e32 v6, v16, v6
	v_cndmask_b32_e32 v11, v13, v11, vcc_lo
	v_cmp_gt_i32_e32 vcc_lo, 1, v12
	v_and_b32_e32 v13, 7, v11
	v_cndmask_b32_e32 v6, v14, v6, vcc_lo
	v_cmp_ne_u32_e32 vcc_lo, 0, v4
	v_lshrrev_b32_e32 v11, 2, v11
	v_cmp_eq_u32_e64 s0, 3, v13
	v_and_b32_e32 v14, 7, v6
	v_cndmask_b32_e64 v4, 0, 1, vcc_lo
	v_cmp_ne_u32_e32 vcc_lo, 0, v8
	v_lshrrev_b32_e32 v6, 2, v6
	v_cmp_lt_i32_e64 s1, 5, v14
	v_cmp_eq_u32_e64 s2, 3, v14
	v_cndmask_b32_e64 v8, 0, 1, vcc_lo
	v_cmp_lt_i32_e32 vcc_lo, 5, v13
	v_lshl_or_b32 v4, v4, 9, 0x7c00
	v_lshl_or_b32 v8, v8, 9, 0x7c00
	s_or_b32 vcc_lo, s0, vcc_lo
	v_add_co_ci_u32_e32 v11, vcc_lo, 0, v11, vcc_lo
	s_or_b32 vcc_lo, s2, s1
	v_add_co_ci_u32_e32 v6, vcc_lo, 0, v6, vcc_lo
	v_cmp_gt_i32_e32 vcc_lo, 31, v10
	v_cndmask_b32_e32 v11, 0x7c00, v11, vcc_lo
	v_cmp_gt_i32_e32 vcc_lo, 31, v12
	v_cndmask_b32_e32 v6, 0x7c00, v6, vcc_lo
	v_cmp_eq_u32_e32 vcc_lo, 0x40f, v10
	v_cndmask_b32_e32 v4, v11, v4, vcc_lo
	v_cmp_eq_u32_e32 vcc_lo, 0x40f, v12
	v_and_or_b32 v4, 0x8000, v7, v4
	v_cndmask_b32_e32 v6, v6, v8, vcc_lo
	v_add_co_u32 v2, vcc_lo, v2, s4
	v_add_co_ci_u32_e32 v3, vcc_lo, s3, v3, vcc_lo
	v_and_or_b32 v6, 0x8000, v9, v6
	v_and_b32_e32 v4, 0xffff, v4
	v_lshl_or_b32 v4, v6, 16, v4
	global_store_dword v[2:3], v4, off
	global_load_dword v0, v[0:1], off offset:1088
	v_lshrrev_b32_e32 v1, 16, v5
	s_waitcnt vmcnt(0)
	v_mul_f16_sdwa v4, v1, v0 dst_sel:DWORD dst_unused:UNUSED_PAD src0_sel:DWORD src1_sel:WORD_1
	v_mul_f16_sdwa v6, v5, v0 dst_sel:DWORD dst_unused:UNUSED_PAD src0_sel:DWORD src1_sel:WORD_1
	v_fmac_f16_e32 v4, v5, v0
	v_fma_f16 v0, v0, v1, -v6
	v_cvt_f32_f16_e32 v1, v4
	v_cvt_f32_f16_e32 v4, v0
	v_cvt_f64_f32_e32 v[0:1], v1
	v_cvt_f64_f32_e32 v[4:5], v4
	v_mul_f64 v[0:1], v[0:1], s[12:13]
	v_mul_f64 v[4:5], v[4:5], s[12:13]
	v_and_or_b32 v0, 0x1ff, v1, v0
	v_and_or_b32 v4, 0x1ff, v5, v4
	v_lshrrev_b32_e32 v6, 8, v1
	v_bfe_u32 v7, v1, 20, 11
	v_lshrrev_b32_e32 v8, 8, v5
	v_cmp_ne_u32_e32 vcc_lo, 0, v0
	v_bfe_u32 v9, v5, 20, 11
	v_lshrrev_b32_e32 v1, 16, v1
	v_sub_nc_u32_e32 v10, 0x3f1, v7
	v_add_nc_u32_e32 v7, 0xfffffc10, v7
	v_cndmask_b32_e64 v0, 0, 1, vcc_lo
	v_cmp_ne_u32_e32 vcc_lo, 0, v4
	v_lshrrev_b32_e32 v5, 16, v5
	v_and_or_b32 v0, 0xffe, v6, v0
	v_cndmask_b32_e64 v4, 0, 1, vcc_lo
	v_sub_nc_u32_e32 v6, 0x3f1, v9
	v_add_nc_u32_e32 v9, 0xfffffc10, v9
	v_and_or_b32 v4, 0xffe, v8, v4
	v_med3_i32 v8, v10, 0, 13
	v_or_b32_e32 v10, 0x1000, v0
	v_med3_i32 v6, v6, 0, 13
	v_or_b32_e32 v11, 0x1000, v4
	v_lshrrev_b32_e32 v12, v8, v10
	v_lshrrev_b32_e32 v13, v6, v11
	v_lshlrev_b32_e32 v8, v8, v12
	v_lshlrev_b32_e32 v6, v6, v13
	v_cmp_ne_u32_e32 vcc_lo, v8, v10
	v_lshl_or_b32 v10, v7, 12, v0
	v_cndmask_b32_e64 v8, 0, 1, vcc_lo
	v_cmp_ne_u32_e32 vcc_lo, v6, v11
	v_lshl_or_b32 v11, v9, 12, v4
	v_or_b32_e32 v8, v12, v8
	v_cndmask_b32_e64 v6, 0, 1, vcc_lo
	v_cmp_gt_i32_e32 vcc_lo, 1, v7
	v_or_b32_e32 v6, v13, v6
	v_cndmask_b32_e32 v8, v10, v8, vcc_lo
	v_cmp_gt_i32_e32 vcc_lo, 1, v9
	v_and_b32_e32 v10, 7, v8
	v_cndmask_b32_e32 v6, v11, v6, vcc_lo
	v_cmp_ne_u32_e32 vcc_lo, 0, v0
	v_lshrrev_b32_e32 v8, 2, v8
	v_cmp_eq_u32_e64 s0, 3, v10
	v_and_b32_e32 v11, 7, v6
	v_cndmask_b32_e64 v0, 0, 1, vcc_lo
	v_cmp_ne_u32_e32 vcc_lo, 0, v4
	v_lshrrev_b32_e32 v6, 2, v6
	v_cmp_lt_i32_e64 s1, 5, v11
	v_cmp_eq_u32_e64 s2, 3, v11
	v_cndmask_b32_e64 v4, 0, 1, vcc_lo
	v_cmp_lt_i32_e32 vcc_lo, 5, v10
	v_lshl_or_b32 v0, v0, 9, 0x7c00
	v_lshl_or_b32 v4, v4, 9, 0x7c00
	s_or_b32 vcc_lo, s0, vcc_lo
	v_add_co_ci_u32_e32 v8, vcc_lo, 0, v8, vcc_lo
	s_or_b32 vcc_lo, s2, s1
	v_add_co_ci_u32_e32 v6, vcc_lo, 0, v6, vcc_lo
	v_cmp_gt_i32_e32 vcc_lo, 31, v7
	v_cndmask_b32_e32 v8, 0x7c00, v8, vcc_lo
	v_cmp_gt_i32_e32 vcc_lo, 31, v9
	v_cndmask_b32_e32 v6, 0x7c00, v6, vcc_lo
	v_cmp_eq_u32_e32 vcc_lo, 0x40f, v7
	v_cndmask_b32_e32 v0, v8, v0, vcc_lo
	v_cmp_eq_u32_e32 vcc_lo, 0x40f, v9
	v_and_or_b32 v0, 0x8000, v1, v0
	v_cndmask_b32_e32 v4, v6, v4, vcc_lo
	v_and_b32_e32 v0, 0xffff, v0
	v_and_or_b32 v1, 0x8000, v5, v4
	v_lshl_or_b32 v4, v1, 16, v0
	v_add_co_u32 v0, vcc_lo, v2, s4
	v_add_co_ci_u32_e32 v1, vcc_lo, s3, v3, vcc_lo
	global_store_dword v[0:1], v4, off
.LBB0_15:
	s_endpgm
	.section	.rodata,"a",@progbits
	.p2align	6, 0x0
	.amdhsa_kernel bluestein_single_fwd_len833_dim1_half_op_CI_CI
		.amdhsa_group_segment_fixed_size 3332
		.amdhsa_private_segment_fixed_size 0
		.amdhsa_kernarg_size 104
		.amdhsa_user_sgpr_count 6
		.amdhsa_user_sgpr_private_segment_buffer 1
		.amdhsa_user_sgpr_dispatch_ptr 0
		.amdhsa_user_sgpr_queue_ptr 0
		.amdhsa_user_sgpr_kernarg_segment_ptr 1
		.amdhsa_user_sgpr_dispatch_id 0
		.amdhsa_user_sgpr_flat_scratch_init 0
		.amdhsa_user_sgpr_private_segment_size 0
		.amdhsa_wavefront_size32 1
		.amdhsa_uses_dynamic_stack 0
		.amdhsa_system_sgpr_private_segment_wavefront_offset 0
		.amdhsa_system_sgpr_workgroup_id_x 1
		.amdhsa_system_sgpr_workgroup_id_y 0
		.amdhsa_system_sgpr_workgroup_id_z 0
		.amdhsa_system_sgpr_workgroup_info 0
		.amdhsa_system_vgpr_workitem_id 0
		.amdhsa_next_free_vgpr 214
		.amdhsa_next_free_sgpr 16
		.amdhsa_reserve_vcc 1
		.amdhsa_reserve_flat_scratch 0
		.amdhsa_float_round_mode_32 0
		.amdhsa_float_round_mode_16_64 0
		.amdhsa_float_denorm_mode_32 3
		.amdhsa_float_denorm_mode_16_64 3
		.amdhsa_dx10_clamp 1
		.amdhsa_ieee_mode 1
		.amdhsa_fp16_overflow 0
		.amdhsa_workgroup_processor_mode 1
		.amdhsa_memory_ordered 1
		.amdhsa_forward_progress 0
		.amdhsa_shared_vgpr_count 0
		.amdhsa_exception_fp_ieee_invalid_op 0
		.amdhsa_exception_fp_denorm_src 0
		.amdhsa_exception_fp_ieee_div_zero 0
		.amdhsa_exception_fp_ieee_overflow 0
		.amdhsa_exception_fp_ieee_underflow 0
		.amdhsa_exception_fp_ieee_inexact 0
		.amdhsa_exception_int_div_zero 0
	.end_amdhsa_kernel
	.text
.Lfunc_end0:
	.size	bluestein_single_fwd_len833_dim1_half_op_CI_CI, .Lfunc_end0-bluestein_single_fwd_len833_dim1_half_op_CI_CI
                                        ; -- End function
	.section	.AMDGPU.csdata,"",@progbits
; Kernel info:
; codeLenInByte = 26568
; NumSgprs: 18
; NumVgprs: 214
; ScratchSize: 0
; MemoryBound: 0
; FloatMode: 240
; IeeeMode: 1
; LDSByteSize: 3332 bytes/workgroup (compile time only)
; SGPRBlocks: 2
; VGPRBlocks: 26
; NumSGPRsForWavesPerEU: 18
; NumVGPRsForWavesPerEU: 214
; Occupancy: 4
; WaveLimiterHint : 1
; COMPUTE_PGM_RSRC2:SCRATCH_EN: 0
; COMPUTE_PGM_RSRC2:USER_SGPR: 6
; COMPUTE_PGM_RSRC2:TRAP_HANDLER: 0
; COMPUTE_PGM_RSRC2:TGID_X_EN: 1
; COMPUTE_PGM_RSRC2:TGID_Y_EN: 0
; COMPUTE_PGM_RSRC2:TGID_Z_EN: 0
; COMPUTE_PGM_RSRC2:TIDIG_COMP_CNT: 0
	.text
	.p2alignl 6, 3214868480
	.fill 48, 4, 3214868480
	.type	__hip_cuid_14379300761aab43,@object ; @__hip_cuid_14379300761aab43
	.section	.bss,"aw",@nobits
	.globl	__hip_cuid_14379300761aab43
__hip_cuid_14379300761aab43:
	.byte	0                               ; 0x0
	.size	__hip_cuid_14379300761aab43, 1

	.ident	"AMD clang version 19.0.0git (https://github.com/RadeonOpenCompute/llvm-project roc-6.4.0 25133 c7fe45cf4b819c5991fe208aaa96edf142730f1d)"
	.section	".note.GNU-stack","",@progbits
	.addrsig
	.addrsig_sym __hip_cuid_14379300761aab43
	.amdgpu_metadata
---
amdhsa.kernels:
  - .args:
      - .actual_access:  read_only
        .address_space:  global
        .offset:         0
        .size:           8
        .value_kind:     global_buffer
      - .actual_access:  read_only
        .address_space:  global
        .offset:         8
        .size:           8
        .value_kind:     global_buffer
      - .actual_access:  read_only
        .address_space:  global
        .offset:         16
        .size:           8
        .value_kind:     global_buffer
      - .actual_access:  read_only
        .address_space:  global
        .offset:         24
        .size:           8
        .value_kind:     global_buffer
      - .actual_access:  read_only
        .address_space:  global
        .offset:         32
        .size:           8
        .value_kind:     global_buffer
      - .offset:         40
        .size:           8
        .value_kind:     by_value
      - .address_space:  global
        .offset:         48
        .size:           8
        .value_kind:     global_buffer
      - .address_space:  global
        .offset:         56
        .size:           8
        .value_kind:     global_buffer
      - .address_space:  global
        .offset:         64
        .size:           8
        .value_kind:     global_buffer
      - .address_space:  global
        .offset:         72
        .size:           8
        .value_kind:     global_buffer
      - .offset:         80
        .size:           4
        .value_kind:     by_value
      - .address_space:  global
        .offset:         88
        .size:           8
        .value_kind:     global_buffer
      - .address_space:  global
        .offset:         96
        .size:           8
        .value_kind:     global_buffer
    .group_segment_fixed_size: 3332
    .kernarg_segment_align: 8
    .kernarg_segment_size: 104
    .language:       OpenCL C
    .language_version:
      - 2
      - 0
    .max_flat_workgroup_size: 119
    .name:           bluestein_single_fwd_len833_dim1_half_op_CI_CI
    .private_segment_fixed_size: 0
    .sgpr_count:     18
    .sgpr_spill_count: 0
    .symbol:         bluestein_single_fwd_len833_dim1_half_op_CI_CI.kd
    .uniform_work_group_size: 1
    .uses_dynamic_stack: false
    .vgpr_count:     214
    .vgpr_spill_count: 0
    .wavefront_size: 32
    .workgroup_processor_mode: 1
amdhsa.target:   amdgcn-amd-amdhsa--gfx1030
amdhsa.version:
  - 1
  - 2
...

	.end_amdgpu_metadata
